;; amdgpu-corpus repo=ROCm/Tensile kind=harvested arch=n/a opt=n/a

/******************************************/
/* Function Prefix                        */
/******************************************/



/******************************************/
/* Begin Kernel                           */
/******************************************/

// Component.Signature.SignatureDefault
.amdgcn_target "amdgcn-amd-amdhsa--gfx942"
.text
.protected Cijk_Alik_Bljk_CB_MT144x128x16_MI16x16x4x1_SN_1LDSB1_APM1_AF0EM1_AF1EM1_AMAS0_ASGT_ASLT_ASEM1_BL1_BS1_CLR0_DTVA0_DTVB0_ETB_EPS1_ELFLR0_EMLL0_FSSC10_FL0_GLVWA1_GLVWB2_GRCGA1_GRCGB1_GRVWn1_GSU1_GSUASB_GLS0_IU1_K1_LBSPPA128_LBSPPB128_LPA1_LPB2_LRVW1_MIAV0_MKFGSU256_NTA0_NTB0_NTC4_NTD4_NEPBS4_NLCA1_NLCB1_ONLL1_PK0_PGR2_PLR1_PKA0_SIA3_SS1_SU8_SUM0_SUS256_SPO1_SRVW0_SSO4_SVW1_TSGRA0_TSGRB0_TT9_32_TLDS1_UMLDSA1_UMLDSB1_USFGROn1_VAW1_VSn1_VW1_VWB1_VFLRP0_WSGRA0_WSGRB0_WG16_16_1_WGMn36
.globl Cijk_Alik_Bljk_CB_MT144x128x16_MI16x16x4x1_SN_1LDSB1_APM1_AF0EM1_AF1EM1_AMAS0_ASGT_ASLT_ASEM1_BL1_BS1_CLR0_DTVA0_DTVB0_ETB_EPS1_ELFLR0_EMLL0_FSSC10_FL0_GLVWA1_GLVWB2_GRCGA1_GRCGB1_GRVWn1_GSU1_GSUASB_GLS0_IU1_K1_LBSPPA128_LBSPPB128_LPA1_LPB2_LRVW1_MIAV0_MKFGSU256_NTA0_NTB0_NTC4_NTD4_NEPBS4_NLCA1_NLCB1_ONLL1_PK0_PGR2_PLR1_PKA0_SIA3_SS1_SU8_SUM0_SUS256_SPO1_SRVW0_SSO4_SVW1_TSGRA0_TSGRB0_TT9_32_TLDS1_UMLDSA1_UMLDSB1_USFGROn1_VAW1_VSn1_VW1_VWB1_VFLRP0_WSGRA0_WSGRB0_WG16_16_1_WGMn36
.p2align 8
.type Cijk_Alik_Bljk_CB_MT144x128x16_MI16x16x4x1_SN_1LDSB1_APM1_AF0EM1_AF1EM1_AMAS0_ASGT_ASLT_ASEM1_BL1_BS1_CLR0_DTVA0_DTVB0_ETB_EPS1_ELFLR0_EMLL0_FSSC10_FL0_GLVWA1_GLVWB2_GRCGA1_GRCGB1_GRVWn1_GSU1_GSUASB_GLS0_IU1_K1_LBSPPA128_LBSPPB128_LPA1_LPB2_LRVW1_MIAV0_MKFGSU256_NTA0_NTB0_NTC4_NTD4_NEPBS4_NLCA1_NLCB1_ONLL1_PK0_PGR2_PLR1_PKA0_SIA3_SS1_SU8_SUM0_SUS256_SPO1_SRVW0_SSO4_SVW1_TSGRA0_TSGRB0_TT9_32_TLDS1_UMLDSA1_UMLDSB1_USFGROn1_VAW1_VSn1_VW1_VWB1_VFLRP0_WSGRA0_WSGRB0_WG16_16_1_WGMn36,@function
.section .rodata,#alloc
.p2align 6
.amdhsa_kernel Cijk_Alik_Bljk_CB_MT144x128x16_MI16x16x4x1_SN_1LDSB1_APM1_AF0EM1_AF1EM1_AMAS0_ASGT_ASLT_ASEM1_BL1_BS1_CLR0_DTVA0_DTVB0_ETB_EPS1_ELFLR0_EMLL0_FSSC10_FL0_GLVWA1_GLVWB2_GRCGA1_GRCGB1_GRVWn1_GSU1_GSUASB_GLS0_IU1_K1_LBSPPA128_LBSPPB128_LPA1_LPB2_LRVW1_MIAV0_MKFGSU256_NTA0_NTB0_NTC4_NTD4_NEPBS4_NLCA1_NLCB1_ONLL1_PK0_PGR2_PLR1_PKA0_SIA3_SS1_SU8_SUM0_SUS256_SPO1_SRVW0_SSO4_SVW1_TSGRA0_TSGRB0_TT9_32_TLDS1_UMLDSA1_UMLDSB1_USFGROn1_VAW1_VSn1_VW1_VWB1_VFLRP0_WSGRA0_WSGRB0_WG16_16_1_WGMn36
  .amdhsa_user_sgpr_kernarg_segment_ptr 1
  .amdhsa_user_sgpr_kernarg_preload_offset 0
  .amdhsa_user_sgpr_kernarg_preload_length 0
  .amdhsa_user_sgpr_count 2
  .amdhsa_accum_offset 256 // accvgpr offset
  .amdhsa_next_free_vgpr 400 // vgprs
  .amdhsa_next_free_sgpr 76 // sgprs
  .amdhsa_group_segment_fixed_size 38144 // lds bytes
  .amdhsa_private_segment_fixed_size 0
  .amdhsa_system_sgpr_workgroup_id_x 1
  .amdhsa_system_sgpr_workgroup_id_y 1
  .amdhsa_system_sgpr_workgroup_id_z 1
  .amdhsa_system_vgpr_workitem_id 0
  .amdhsa_float_denorm_mode_32 3
  .amdhsa_float_denorm_mode_16_64 3
.end_amdhsa_kernel
.text

/******************************************/
/* Optimizations and Config:              */
/******************************************/
/* ThreadTile= 36 x 2 */
/* SubGroup= 4 x 64 */
/* VectorWidthA=1 */
/* VectorWidthB=1 */
/* GlobalLoadVectorWidthA=1, GlobalLoadVectorWidthB=2 */
/* DirectToLdsA=False */
/* DirectToLdsB=False */
/* UseSgprForGRO=1 */
.amdgpu_metadata
---
amdhsa.version:
  - 1
  - 1
amdhsa.target: amdgcn-amd-amdhsa--gfx942
amdhsa.kernels:
  - .name: Cijk_Alik_Bljk_CB_MT144x128x16_MI16x16x4x1_SN_1LDSB1_APM1_AF0EM1_AF1EM1_AMAS0_ASGT_ASLT_ASEM1_BL1_BS1_CLR0_DTVA0_DTVB0_ETB_EPS1_ELFLR0_EMLL0_FSSC10_FL0_GLVWA1_GLVWB2_GRCGA1_GRCGB1_GRVWn1_GSU1_GSUASB_GLS0_IU1_K1_LBSPPA128_LBSPPB128_LPA1_LPB2_LRVW1_MIAV0_MKFGSU256_NTA0_NTB0_NTC4_NTD4_NEPBS4_NLCA1_NLCB1_ONLL1_PK0_PGR2_PLR1_PKA0_SIA3_SS1_SU8_SUM0_SUS256_SPO1_SRVW0_SSO4_SVW1_TSGRA0_TSGRB0_TT9_32_TLDS1_UMLDSA1_UMLDSB1_USFGROn1_VAW1_VSn1_VW1_VWB1_VFLRP0_WSGRA0_WSGRB0_WG16_16_1_WGMn36
    .symbol: 'Cijk_Alik_Bljk_CB_MT144x128x16_MI16x16x4x1_SN_1LDSB1_APM1_AF0EM1_AF1EM1_AMAS0_ASGT_ASLT_ASEM1_BL1_BS1_CLR0_DTVA0_DTVB0_ETB_EPS1_ELFLR0_EMLL0_FSSC10_FL0_GLVWA1_GLVWB2_GRCGA1_GRCGB1_GRVWn1_GSU1_GSUASB_GLS0_IU1_K1_LBSPPA128_LBSPPB128_LPA1_LPB2_LRVW1_MIAV0_MKFGSU256_NTA0_NTB0_NTC4_NTD4_NEPBS4_NLCA1_NLCB1_ONLL1_PK0_PGR2_PLR1_PKA0_SIA3_SS1_SU8_SUM0_SUS256_SPO1_SRVW0_SSO4_SVW1_TSGRA0_TSGRB0_TT9_32_TLDS1_UMLDSA1_UMLDSB1_USFGROn1_VAW1_VSn1_VW1_VWB1_VFLRP0_WSGRA0_WSGRB0_WG16_16_1_WGMn36.kd'
    .language:                   OpenCL C
    .language_version:
      - 2
      - 0
    .args:
      - .name:            Tensor2dSizeA
        .size:            8
        .offset:          0
        .value_kind:      by_value
        .value_type:      u64
      - .name:            Tensor2dSizeB
        .size:            8
        .offset:          8
        .value_kind:      by_value
        .value_type:      u64
      - .name:            AddressD
        .size:            8
        .offset:          16
        .value_kind:      by_value
        .value_type:      u64
      - .name:            AddressC
        .size:            8
        .offset:          24
        .value_kind:      by_value
        .value_type:      u64
      - .name:            AddressA
        .size:            8
        .offset:          32
        .value_kind:      by_value
        .value_type:      u64
      - .name:            AddressB
        .size:            8
        .offset:          40
        .value_kind:      by_value
        .value_type:      u64
      - .name:            Alpha
        .size:            8
        .offset:          48
        .value_kind:      by_value
        .value_type:      u64
      - .name:            Beta
        .size:            8
        .offset:          56
        .value_kind:      by_value
        .value_type:      u64
      - .name:            StridesD
        .size:            8
        .offset:          64
        .value_kind:      by_value
        .value_type:      u64
      - .name:            StridesC
        .size:            8
        .offset:          72
        .value_kind:      by_value
        .value_type:      u64
      - .name:            StridesA
        .size:            8
        .offset:          80
        .value_kind:      by_value
        .value_type:      u64
      - .name:            StridesB
        .size:            8
        .offset:          88
        .value_kind:      by_value
        .value_type:      u64
      - .name:            SizesFree
        .size:            12
        .offset:          96
        .value_kind:      by_value
        .value_type:      u96
      - .name:            SizesSum
        .size:            4
        .offset:          108
        .value_kind:      by_value
        .value_type:      u32
      - .name:            OrigStaggerUIter
        .size:            4
        .offset:          112
        .value_kind:      by_value
        .value_type:      u32
      - .name:            NumWorkGroups0
        .size:            4
        .offset:          116
        .value_kind:      by_value
        .value_type:      u32
      - .name:            NumWorkGroups1
        .size:            4
        .offset:          120
        .value_kind:      by_value
        .value_type:      u32
      - .name:            NumFullBlocks
        .size:            4
        .offset:          124
        .value_kind:      by_value
        .value_type:      u32
      - .name:            WgmRemainder1
        .size:            4
        .offset:          128
        .value_kind:      by_value
        .value_type:      u32
      - .name:            MagicNumberWgmRemainder1
        .size:            4
        .offset:          132
        .value_kind:      by_value
        .value_type:      u32
    .group_segment_fixed_size:   38144
    .kernarg_segment_align:      8
    .kernarg_segment_size:       136
    .max_flat_workgroup_size:    256
    .private_segment_fixed_size: 0
    .sgpr_count:                 76
    .sgpr_spill_count:           0
    .vgpr_count:                 256
    .vgpr_spill_count:           0
    .wavefront_size:             64
...
.end_amdgpu_metadata
Cijk_Alik_Bljk_CB_MT144x128x16_MI16x16x4x1_SN_1LDSB1_APM1_AF0EM1_AF1EM1_AMAS0_ASGT_ASLT_ASEM1_BL1_BS1_CLR0_DTVA0_DTVB0_ETB_EPS1_ELFLR0_EMLL0_FSSC10_FL0_GLVWA1_GLVWB2_GRCGA1_GRCGB1_GRVWn1_GSU1_GSUASB_GLS0_IU1_K1_LBSPPA128_LBSPPB128_LPA1_LPB2_LRVW1_MIAV0_MKFGSU256_NTA0_NTB0_NTC4_NTD4_NEPBS4_NLCA1_NLCB1_ONLL1_PK0_PGR2_PLR1_PKA0_SIA3_SS1_SU8_SUM0_SUS256_SPO1_SRVW0_SSO4_SVW1_TSGRA0_TSGRB0_TT9_32_TLDS1_UMLDSA1_UMLDSB1_USFGROn1_VAW1_VSn1_VW1_VWB1_VFLRP0_WSGRA0_WSGRB0_WG16_16_1_WGMn36:

/******************************************/
/* Asm syntax workarounds                 */
/******************************************/
.macro _v_add_co_u32 dst:req, cc:req, src0:req, src1:req, dpp=
   v_add_co_u32 \dst, \cc, \src0, \src1 \dpp
.endm

.macro _v_add_u32 dst:req, src0:req, src1:req, dpp=
   v_add_u32 \dst, \src0, \src1 \dpp
.endm

.macro _v_add_i32 dst:req, src0:req, src1:req, dpp=
   v_add_i32 \dst, \src0, \src1 \dpp
.endm

.macro _v_addc_co_u32 dst:req, ccOut:req, src0:req, ccIn:req, src1:req, dpp=
   v_addc_co_u32 \dst, \ccOut, \src0, \ccIn, \src1 \dpp
.endm

.macro _v_sub_co_u32 dst:req, cc:req, src0:req, src1:req, dpp=
   v_sub_co_u32 \dst, \cc, \src0, \src1 \dpp
.endm

.macro _v_sub_u32 dst:req, src0:req, src1:req, dpp=
   v_sub_u32 \dst, \src0, \src1 \dpp
.endm

.macro _v_sub_i32 dst:req, src0:req, src1:req, dpp=
   v_sub_i32 \dst, \src0, \src1 \dpp
.endm

.macro _v_add_lshl_u32 dst:req, src0:req, src1:req, shiftCnt:req
    v_add_lshl_u32 \dst, \src0, \src1, \shiftCnt
.endm

.macro _v_lshl_add_u32 dst:req, src0:req, src1:req, shiftCnt:req
    v_lshl_add_u32 \dst, \src0, \src1, \shiftCnt
.endm

.macro _v_lshl_or_b32 dst:req, src0:req, shiftCnt:req, src1:req
    v_lshl_or_b32 \dst, \src0, \shiftCnt, \src1
.endm

.macro _v_dot2acc_f32_f16 dst, src0, src1
v_dot2c_f32_f16 \dst, \src0, \src1
.endm

.macro _v_cmpx_lt_i16 dst, src0, src1=
   v_cmpx_lt_i16 \dst, \src0, \src1 
.endm

.macro _v_cmpx_lt_i32 dst, src0, src1=
   v_cmpx_lt_i32 \dst, \src0, \src1 
.endm

.macro _v_cmpx_lt_i64 dst, src0, src1=
   v_cmpx_lt_i64 \dst, \src0, \src1 
.endm

.macro _v_cmpx_lt_u16 dst, src0, src1=
   v_cmpx_lt_u16 \dst, \src0, \src1 
.endm

.macro _v_cmpx_lt_u32 dst, src0, src1=
   v_cmpx_lt_u32 \dst, \src0, \src1 
.endm

.macro _v_cmpx_lt_u64 dst, src0, src1=
   v_cmpx_lt_u64 \dst, \src0, \src1 
.endm

.macro _v_cmpx_eq_i16 dst, src0, src1=
   v_cmpx_eq_i16 \dst, \src0, \src1 
.endm

.macro _v_cmpx_eq_i32 dst, src0, src1=
   v_cmpx_eq_i32 \dst, \src0, \src1 
.endm

.macro _v_cmpx_eq_i64 dst, src0, src1=
   v_cmpx_eq_i64 \dst, \src0, \src1 
.endm

.macro _v_cmpx_eq_u16 dst, src0, src1=
   v_cmpx_eq_u16 \dst, \src0, \src1 
.endm

.macro _v_cmpx_eq_u32 dst, src0, src1=
   v_cmpx_eq_u32 \dst, \src0, \src1 
.endm

.macro _v_cmpx_eq_u64 dst, src0, src1=
   v_cmpx_eq_u64 \dst, \src0, \src1 
.endm

.macro _v_cmpx_le_i16 dst, src0, src1=
   v_cmpx_le_i16 \dst, \src0, \src1 
.endm

.macro _v_cmpx_le_i32 dst, src0, src1=
   v_cmpx_le_i32 \dst, \src0, \src1 
.endm

.macro _v_cmpx_le_i64 dst, src0, src1=
   v_cmpx_le_i64 \dst, \src0, \src1 
.endm

.macro _v_cmpx_le_u16 dst, src0, src1=
   v_cmpx_le_u16 \dst, \src0, \src1 
.endm

.macro _v_cmpx_le_u32 dst, src0, src1=
   v_cmpx_le_u32 \dst, \src0, \src1 
.endm

.macro _v_cmpx_le_u64 dst, src0, src1=
   v_cmpx_le_u64 \dst, \src0, \src1 
.endm

.macro _v_cmpx_gt_i16 dst, src0, src1=
   v_cmpx_gt_i16 \dst, \src0, \src1 
.endm

.macro _v_cmpx_gt_i32 dst, src0, src1=
   v_cmpx_gt_i32 \dst, \src0, \src1 
.endm

.macro _v_cmpx_gt_i64 dst, src0, src1=
   v_cmpx_gt_i64 \dst, \src0, \src1 
.endm

.macro _v_cmpx_gt_u16 dst, src0, src1=
   v_cmpx_gt_u16 \dst, \src0, \src1 
.endm

.macro _v_cmpx_gt_u32 dst, src0, src1=
   v_cmpx_gt_u32 \dst, \src0, \src1 
.endm

.macro _v_cmpx_gt_u64 dst, src0, src1=
   v_cmpx_gt_u64 \dst, \src0, \src1 
.endm

.macro _v_cmpx_ne_i16 dst, src0, src1=
   v_cmpx_ne_i16 \dst, \src0, \src1 
.endm

.macro _v_cmpx_ne_i32 dst, src0, src1=
   v_cmpx_ne_i32 \dst, \src0, \src1 
.endm

.macro _v_cmpx_ne_i64 dst, src0, src1=
   v_cmpx_ne_i64 \dst, \src0, \src1 
.endm

.macro _v_cmpx_ne_u16 dst, src0, src1=
   v_cmpx_ne_u16 \dst, \src0, \src1 
.endm

.macro _v_cmpx_ne_u32 dst, src0, src1=
   v_cmpx_ne_u32 \dst, \src0, \src1 
.endm

.macro _v_cmpx_ne_u64 dst, src0, src1=
   v_cmpx_ne_u64 \dst, \src0, \src1 
.endm

.macro _v_cmpx_lg_i16 dst, src0, src1=
   v_cmpx_lg_i16 \dst, \src0, \src1 
.endm

.macro _v_cmpx_lg_i32 dst, src0, src1=
   v_cmpx_lg_i32 \dst, \src0, \src1 
.endm

.macro _v_cmpx_lg_i64 dst, src0, src1=
   v_cmpx_lg_i64 \dst, \src0, \src1 
.endm

.macro _v_cmpx_lg_u16 dst, src0, src1=
   v_cmpx_lg_u16 \dst, \src0, \src1 
.endm

.macro _v_cmpx_lg_u32 dst, src0, src1=
   v_cmpx_lg_u32 \dst, \src0, \src1 
.endm

.macro _v_cmpx_lg_u64 dst, src0, src1=
   v_cmpx_lg_u64 \dst, \src0, \src1 
.endm

.macro _v_cmpx_ge_i16 dst, src0, src1=
   v_cmpx_ge_i16 \dst, \src0, \src1 
.endm

.macro _v_cmpx_ge_i32 dst, src0, src1=
   v_cmpx_ge_i32 \dst, \src0, \src1 
.endm

.macro _v_cmpx_ge_i64 dst, src0, src1=
   v_cmpx_ge_i64 \dst, \src0, \src1 
.endm

.macro _v_cmpx_ge_u16 dst, src0, src1=
   v_cmpx_ge_u16 \dst, \src0, \src1 
.endm

.macro _v_cmpx_ge_u32 dst, src0, src1=
   v_cmpx_ge_u32 \dst, \src0, \src1 
.endm

.macro _v_cmpx_ge_u64 dst, src0, src1=
   v_cmpx_ge_u64 \dst, \src0, \src1 
.endm

.macro _v_cmpx_o_i16 dst, src0, src1=
   v_cmpx_o_i16 \dst, \src0, \src1 
.endm

.macro _v_cmpx_o_i32 dst, src0, src1=
   v_cmpx_o_i32 \dst, \src0, \src1 
.endm

.macro _v_cmpx_o_i64 dst, src0, src1=
   v_cmpx_o_i64 \dst, \src0, \src1 
.endm

.macro _v_cmpx_o_u16 dst, src0, src1=
   v_cmpx_o_u16 \dst, \src0, \src1 
.endm

.macro _v_cmpx_o_u32 dst, src0, src1=
   v_cmpx_o_u32 \dst, \src0, \src1 
.endm

.macro _v_cmpx_o_u64 dst, src0, src1=
   v_cmpx_o_u64 \dst, \src0, \src1 
.endm

.macro _v_cmpx_u_i16 dst, src0, src1=
   v_cmpx_u_i16 \dst, \src0, \src1 
.endm

.macro _v_cmpx_u_i32 dst, src0, src1=
   v_cmpx_u_i32 \dst, \src0, \src1 
.endm

.macro _v_cmpx_u_i64 dst, src0, src1=
   v_cmpx_u_i64 \dst, \src0, \src1 
.endm

.macro _v_cmpx_u_u16 dst, src0, src1=
   v_cmpx_u_u16 \dst, \src0, \src1 
.endm

.macro _v_cmpx_u_u32 dst, src0, src1=
   v_cmpx_u_u32 \dst, \src0, \src1 
.endm

.macro _v_cmpx_u_u64 dst, src0, src1=
   v_cmpx_u_u64 \dst, \src0, \src1 
.endm
.macro _v_mac_f32 c:req, a:req, b:req
    v_fmac_f32 \c, \a, \b
.endmacro

/* scale global load macros */
.macro _s_load_b32 dst base offset
    s_load_dword \dst \base \offset
.endm

.macro _s_load_b64 dst base offset
    s_load_dwordx2 \dst \base \offset
.endm

.macro _s_load_b128 dst base offset
    s_load_dwordx4 \dst \base \offset
.endm

.macro _s_load_b256 dst base offset
    s_load_dwordx8 \dst \base \offset
.endm

.macro _s_load_b512 dst base offset
    s_load_dwordx16 \dst \base \offset
.endm


/* ds operation macros */
.macro _ds_load_u8 dst src offset
    ds_read_u8 \dst \src \offset
.endm

.macro _ds_load_u8_d16_hi dst src offset
    ds_read_u8_d16_hi \dst \src \offset
.endm

.macro _ds_load_u16 dst src offset
    ds_read_u16 \dst \src \offset
.endm

.macro _ds_load_u16_d16_hi dst src offset
    ds_read_u16_d16_hi \dst \src \offset
.endm

.macro _ds_load_b32 dst src offset
    ds_read_b32 \dst \src \offset
.endm

.macro _ds_load_b64 dst src offset
    ds_read_b64 \dst \src \offset
.endm

.macro _ds_load_b128 dst src offset
    ds_read_b128 \dst \src \offset
.endm

.macro _ds_store_b8 dst src offset
    ds_write_b8 \dst \src \offset
.endm

.macro _ds_store_b8_d16_hi dst src offset
    ds_write_b8_d16_hi \dst \src \offset
.endm

.macro _ds_store_b16 dst src offset
    ds_write_b16 \dst \src \offset
.endm

.macro _ds_store_b16_d16_hi dst src offset
    ds_write_b16_d16_hi \dst \src \offset
.endm

.macro _ds_store_b32 dst src offset
    ds_write_b32 \dst \src \offset
.endm

.macro _ds_store_b64 dst src offset
    ds_write_b64 \dst \src \offset
.endm

.macro _ds_store_b128 dst src offset
    ds_write_b128 \dst \src \offset
.endm

.macro _ds_load2_b32 dst src offset1 offset2
    ds_read2_b32 \dst \src \offset1 \offset2
.endm

.macro _ds_load2_b64 dst src offset1 offset2
    ds_read2_b64 \dst \src \offset1 \offset2
.endm

.macro _ds_store2_b32 dst src offset1 offset2
    ds_write2_b32 \dst \src \offset1 \offset2
.endm

.macro _ds_store2_b64 dst src offset1 offset2
    ds_write2_b64 \dst \src \offset1 \offset2
.endm


/* buffer memory operation macros */
.macro _buffer_load_b32 dst voffset base soffset offen ioffset md0 md1 md2
    buffer_load_dword \dst \voffset \base \soffset \offen \ioffset \md0 \md1 \md2
.endm

.macro _buffer_load_b64 dst voffset base soffset offen ioffset md0 md1 md2
    buffer_load_dwordx2 \dst \voffset \base \soffset \offen \ioffset \md0 \md1 \md2
.endm

.macro _buffer_load_b96 dst voffset base soffset offen ioffset md0 md1 md2
    buffer_load_dwordx3 \dst \voffset \base \soffset \offen \ioffset \md0 \md1 \md2
.endm

.macro _buffer_load_b128 dst voffset base soffset offen ioffset md0 md1 md2
    buffer_load_dwordx4 \dst \voffset \base \soffset \offen \ioffset \md0 \md1 \md2
.endm

.macro _buffer_load_d16_b16 dst voffset base soffset offen ioffset md0 md1 md2
    buffer_load_short_d16 \dst \voffset \base \soffset \offen \ioffset \md0 \md1 \md2
.endm

.macro _buffer_load_d16_hi_b16 dst voffset base soffset offen ioffset md0 md1 md2
    buffer_load_short_d16_hi \dst \voffset \base \soffset \offen \ioffset \md0 \md1 \md2
.endm

.macro _buffer_load_d16_u8 dst voffset base soffset offen ioffset md0 md1 md2
    buffer_load_ubyte_d16 \dst \voffset \base \soffset \offen \ioffset \md0 \md1 \md2
.endm

.macro _buffer_load_d16_hi_u8 dst voffset base soffset offen ioffset md0 md1 md2
    buffer_load_ubyte_d16_hi \dst \voffset \base \soffset \offen \ioffset \md0 \md1 \md2
.endm

.macro _buffer_load_u16 dst voffset base soffset offen ioffset md0 md1 md2
    buffer_load_ushort \dst \voffset \base \soffset \offen \ioffset \md0 \md1 \md2
.endm

.macro _buffer_load_b32_dtl voffset base soffset offen ioffset md0 md1 md2
    buffer_load_dword \voffset \base \soffset \offen \ioffset \md0 \md1 \md2
.endm

.macro _buffer_load_b64_dtl voffset base soffset offen ioffset md0 md1 md2
    buffer_load_dwordx2 \voffset \base \soffset \offen \ioffset \md0 \md1 \md2
.endm

.macro _buffer_load_b128_dtl voffset base soffset offen ioffset md0 md1 md2
    buffer_load_dwordx4 \voffset \base \soffset \offen \ioffset \md0 \md1 \md2
.endm

.macro _buffer_load_u16_dtl voffset base soffset offen ioffset md0 md1 md2
    buffer_load_ushort \voffset \base \soffset \offen \ioffset \md0 \md1 \md2
.endm

.macro _buffer_store_b32 src voffset base soffset offen ioffset md0 md1 md2
    buffer_store_dword \src \voffset \base \soffset \offen \ioffset \md0 \md1 \md2
.endm

.macro _buffer_store_b64 src voffset base soffset offen ioffset md0 md1 md2
    buffer_store_dwordx2 \src \voffset \base \soffset \offen \ioffset \md0 \md1 \md2
.endm

.macro _buffer_store_b96 src voffset base soffset offen ioffset md0 md1 md2
    buffer_store_dwordx3 \src \voffset \base \soffset \offen \ioffset \md0 \md1 \md2
.endm

.macro _buffer_store_b128 src voffset base soffset offen ioffset md0 md1 md2
    buffer_store_dwordx4 \src \voffset \base \soffset \offen \ioffset \md0 \md1 \md2
.endm

.macro _buffer_store_b16 src voffset base soffset offen ioffset md0 md1 md2
    buffer_store_short \src \voffset \base \soffset \offen \ioffset \md0 \md1 \md2
.endm

.macro _buffer_store_d16_hi_b16 src voffset base soffset offen ioffset md0 md1 md2
    buffer_store_short_d16_hi \src \voffset \base \soffset \offen \ioffset \md0 \md1 \md2
.endm

.macro _buffer_store_b8 src voffset base soffset offen ioffset md0 md1 md2
    buffer_store_byte \src \voffset \base \soffset \offen \ioffset \md0 \md1 \md2
.endm

.macro _buffer_store_d16_hi_b8 src voffset base soffset offen ioffset md0 md1 md2
    buffer_store_byte_d16_hi \src \voffset \base \soffset \offen \ioffset \md0 \md1 \md2
.endm

.macro _buffer_atomic_cmpswap_b32 dst voffset base soffset offen ioffset md0 md1 md2
    buffer_atomic_cmpswap \dst \voffset \base \soffset \offen \ioffset \md0 \md1 \md2
.endm

.macro _buffer_atomic_cmpswap_b64 dst voffset base soffset offen ioffset md0 md1 md2
    buffer_atomic_cmpswap_x2 \dst \voffset \base \soffset \offen \ioffset \md0 \md1 \md2
.endm


/* buffer memory operation macros */
.macro _global_load_b32 dst base src ioffset md0 md1 md2
    global_load_dword \dst \base \src \ioffset \md0 \md1 \md2
.endm

.macro _global_load_b64 dst base src ioffset md0 md1 md2
    global_load_dwordx2 \dst \base \src \ioffset \md0 \md1 \md2
.endm

.macro _global_load_b96 dst base src ioffset md0 md1 md2
    global_load_dwordx3 \dst \base \src \ioffset \md0 \md1 \md2
.endm

.macro _global_load_b128 dst base src ioffset md0 md1 md2
    global_load_dwordx4 \dst \base \src \ioffset \md0 \md1 \md2
.endm

.macro _global_load_d16_b16 dst base src ioffset md0 md1 md2
    global_load_short_d16 \dst \base \src \ioffset \md0 \md1 \md2
.endm

.macro _global_load_d16_hi_b16 dst base src ioffset md0 md1 md2
    global_load_short_d16_hi \dst \base \src \ioffset \md0 \md1 \md2
.endm

.macro _global_load_d16_u8 dst base src ioffset md0 md1 md2
    global_load_ubyte_d16 \dst \base \src \ioffset \md0 \md1 \md2
.endm

.macro _global_load_d16_hi_u8 dst base src ioffset md0 md1 md2
    global_load_ubyte_d16_hi \dst \base \src \ioffset \md0 \md1 \md2
.endm

.macro _global_load_u16 dst base src ioffset md0 md1 md2
    global_load_ushort \dst \base \src \ioffset \md0 \md1 \md2
.endm

.macro _global_store_b32 base src src2 md0 md1 md2
    global_store_dword \base \src \src2 \md0 \md1 \md2
.endm

.macro _global_store_b64 base src src2 md0 md1 md2
    global_store_dwordx2 \base \src \src2 \md0 \md1 \md2
.endm

.macro _global_store_b96 base src src2 md0 md1 md2
    global_store_dwordx3 \base \src \src2 \md0 \md1 \md2
.endm

.macro _global_store_b128 base src src2 md0 md1 md2
    global_store_dwordx4 \base \src \src2 \md0 \md1 \md2
.endm

.macro _global_store_d16_b16 base src src2 md0 md1 md2
    global_store_short \base \src \src2 \md0 \md1 \md2
.endm

.macro _global_store_d16_hi_b16 base src src2 md0 md1 md2
    global_store_short_d16_hi \base \src \src2 \md0 \md1 \md2
.endm

.macro _global_store_d16_u8 base src src2 md0 md1 md2
    global_store_ubyte_d16 \base \src \src2 \md0 \md1 \md2
.endm

.macro _global_store_d16_hi_u8 base src src2 md0 md1 md2
    global_store_ubyte_d16_hi \base \src \src2 \md0 \md1 \md2
.endm

.macro _global_store_u16 base src src2 md0 md1 md2
    global_store_ushort \base \src \src2 \md0 \md1 \md2
.endm

.macro _global_atomic_cmpswap_b32 tmp base data src ioffset md
    global_atomic_cmpswap \tmp \base \data \src \ioffset \md
.endm

.macro _global_atomic_cmpswap_b64 tmp base data src ioffset md
    global_atomic_cmpswap_x2 \tmp \base \data \src \ioffset \md
.endm


/******************************************/
/* Magic div and mod functions            */
/******************************************/
.macro V_MAGIC_DIV dstIdx:req, dividend:req, magicNumber:req, magicShift:req, magicA:req
    v_mul_hi_u32 v[\dstIdx+1], \dividend, \magicNumber
    v_mul_lo_u32 v[\dstIdx+0], \dividend, \magicA
    _v_add_u32 v[\dstIdx+0], v[\dstIdx+0], v[\dstIdx+1]
    v_lshrrev_b32 v[\dstIdx+0], \magicShift, v[\dstIdx+0]
.endm

/******************************************/
/* VGPR Assignments                       */
/******************************************/
/* ValuC range: [0-0), serializedStore enabled */
.set vgprValuC, 0
/* ValuA/B   Xn=PLR buffer idx,  In=InnerUnroll idx */
.set vgprValuA_X0_I0, 0
.set vgprValuA_X1_I0, 18
.set vgprG2LA, 48
.set vgprValuB_X0_I0, 36
.set vgprValuB_X1_I0, 40
.set vgprG2LB, 66
.set vgprLocalWriteAddrA, 44
.set vgprLocalWriteAddrB, 45
.set vgprGlobalReadOffsetA, 46
.set vgprGlobalReadOffsetB, 47
.set vgprLocalReadAddrA, 82
.set vgprLocalReadAddrB, 83
.set vgprSerial, 84
/* Num VGPR=256 */
/* Num AccVGPR=144 */

/******************************************/
/* SGPR Assignments                       */
/******************************************/
.set sgprKernArgAddress, 0 // (2)
.set sgprWorkGroup0, 2 // (1)
.set sgprWorkGroup1, 3 // (1)
.set sgprWorkGroup2, 4 // (1)
.set sgprLoopCounterL, 5 // (1)
.set sgprOrigLoopCounter, 6 // (1)
.set sgprSrdA, 8 // (4)
.set sgprSrdB, 12 // (4)
.set sgprSrdD, 16 // (4)
.set sgprSrdC, 20 // (4)
.set sgprTensor2dSizeA, 24 // (2)
.set sgprTensor2dSizeB, 26 // (2)
.set sgprAddressD, 28 // (2)
.set sgprAddressC, 30 // (2)
.set sgprAddressA, 32 // (2)
.set sgprAddressB, 34 // (2)
.set sgprAlpha, 36 // (2)
.set sgprBeta, 38 // (2)
.set sgprStridesD, 40 // (2)
.set sgprStridesC, 42 // (2)
.set sgprStridesA, 44 // (2)
.set sgprStridesB, 46 // (2)
.set sgprSizesFree, 48 // (3)
.set sgprSizesSum, 51 // (1)
.set sgprOrigStaggerUIter, 52 // (1)
.set sgprNumWorkGroups0, 53 // (1)
.set sgprNumWorkGroups1, 54 // (1)
.set sgprNumFullBlocks, 55 // (1)
.set sgprWgmRemainder1, 56 // (1)
.set sgprMagicNumberWgmRemainder1, 57 // (1)
.set sgprShadowLimitA, 0 // (2)
.set sgprShadowLimitB, 28 // (2)
.set sgprStaggerUIter, 7 // (1)
.set sgprWrapUA, 30 // (2)
.set sgprWrapUB, 32 // (2)
.set sgprGlobalReadIncsA, 34 // (1)
.set sgprGlobalReadIncsB, 35 // (1)
.set sgprScalarGlobalReadOffsetA, 60 // (8)
.set sgprScalarGlobalReadOffsetB, 68 // (3)
/* max SGPR=76 */

/* Size Assignments */
.set sgprSizeI, sgprSizesFree+0
.set sgprSizeJ, sgprSizesFree+1
.set sgprSizeK, sgprSizesFree+2
.set sgprSizeL, sgprSizesSum+0

/* Stride Assignments */
.set constStrideD0I, 1
.set sgprStrideD1J, sgprStridesD+0
.set sgprStrideDK, sgprStridesD+1
.set constStrideC0I, 1
.set sgprStrideC1J, sgprStridesC+0
.set sgprStrideCK, sgprStridesC+1
.set constStrideAL, 1
.set sgprStrideA0I, sgprStridesA+0
.set sgprStrideAK, sgprStridesA+1
.set constStrideBL, 1
.set sgprStrideB1J, sgprStridesB+0
.set sgprStrideBK, sgprStridesB+1

.set MT0, 144
.set MT1, 128
.set DepthU, 16
.set GSU, 1
.set BpeA, 8
.set BpeALog2, 3
.set BpeB, 8
.set BpeBLog2, 3
/* Number of elements to shift-left SRD */
.set SrdShiftLeftA, 1
.set SrdShiftLeftB, 2
/* 2GB limit - set offsets to -1 to exceed this and clamp */
.set BufferLimitA, 0xffffffff
.set BufferLimitB, 0xffffffff
.set BufferOOB, 0xfffff000

/******************************************/
/* Bits 127:96 of SRD.                    */
/* hex: 0x00020000                        */
/* dst_sel_x (3b): 0                      */
/* dst_sel_y (3b): 0                      */
/* dst_sel_z (3b): 0                      */
/* dst_sel_w (3b): 0                      */
/* num_format (3b): 0                     */
/* data_format (4b): 4                    */
/* user_vm_enable (1b): 0                 */
/* user_vm_mode (1b): 0                   */
/* index_stride (2b): 0                   */
/* add_tid_enable (1b): 0                 */
/* _unusedA (3b): 0                       */
/* nv (1b): 0                             */
/* _unusedB (2b): 0                       */
/* type (2b): 0                           */
/******************************************/
.set Srd127_96, 0x00020000

/* Global Offset A */
.macro GLOBAL_OFFSET_A vgprAddr:req vgprOffsetL:req vgprOffset0I:req vgprTmp:req
v_mul_lo_u32 v[\vgprTmp+0], s[sgprStrideA0I], v[\vgprOffset0I] // mul d1 lower
_v_add_co_u32 v[\vgprAddr+0], vcc, v[\vgprOffsetL], v[\vgprTmp+0] // accumulate K lower
_v_add_u32 v[\vgprAddr+0], 0x1, v[\vgprAddr+0]     // add prepad for pointer shift
v_lshlrev_b32 v[\vgprAddr+0], 0x3, v[\vgprAddr+0]  // offset *= bytes/element
.endm

/* Global Offset B */
.macro GLOBAL_OFFSET_B vgprAddr:req vgprOffsetL:req vgprOffset1J:req vgprTmp:req
v_mul_lo_u32 v[\vgprTmp+0], s[sgprStrideB1J], v[\vgprOffset1J] // mul d1 lower
_v_add_co_u32 v[\vgprAddr+0], vcc, v[\vgprOffsetL], v[\vgprTmp+0] // accumulate K lower
_v_add_u32 v[\vgprAddr+0], 0x2, v[\vgprAddr+0]     // add prepad for pointer shift
v_lshlrev_b32 v[\vgprAddr+0], 0x3, v[\vgprAddr+0]  // offset *= bytes/element
.endm

/******************************************/
/* Dynamic Scalar Divide: vQuotient=vDividend/vDivisor; vRemainder=vDividend%vDivisor; */
/******************************************/
.macro DYNAMIC_VECTOR_DIVIDE vQuotient vRemainder vDividend vDivisor vTmp0 vTmp1 sTmp
v_cvt_f32_u32 v[\vQuotient], v[\vDivisor]          // 
v_rcp_f32 v[\vQuotient], v[\vQuotient]             // 
v_mul_f32 v[\vQuotient], 0x4f800000, v[\vQuotient] // 
v_cvt_u32_f32 v[\vQuotient], v[\vQuotient]         // 
v_mul_lo_u32 v[\vRemainder], v[\vDivisor], v[\vQuotient] // 
v_mul_hi_u32 v[\vTmp0], v[\vDivisor], v[\vQuotient] // 
_v_sub_co_u32 v[\vTmp1], vcc, 0x0, v[\vRemainder]  // 
v_cmp_ne_i32 s[\sTmp:\sTmp+1], 0x0, v[\vTmp0]      // 
v_cndmask_b32 v[\vRemainder], v[\vTmp1], v[\vRemainder], s[\sTmp:\sTmp+1] // 
v_mul_hi_u32 v[\vRemainder], v[\vRemainder], v[\vQuotient] // 
_v_sub_co_u32 v[\vTmp0], vcc, v[\vQuotient], v[\vRemainder] // 
_v_add_co_u32 v[\vQuotient], vcc, v[\vQuotient], v[\vRemainder] // 
v_cndmask_b32 v[\vQuotient], v[\vQuotient], v[\vTmp0], s[\sTmp:\sTmp+1] // 
v_mul_hi_u32 v[\vQuotient], v[\vQuotient], v[\vDividend] // 
v_mul_lo_u32 v[\vRemainder], v[\vQuotient], v[\vDivisor] // 
_v_sub_co_u32 v[\vTmp0], vcc, v[\vDividend], v[\vRemainder] // 
v_cmp_ge_u32 s[\sTmp:\sTmp+1], v[\vDividend], v[\vRemainder] // 
_v_add_co_u32 v[\vRemainder], vcc, 0x1, v[\vQuotient] // 
_v_add_co_u32 v[\vTmp1], vcc, -1, v[\vQuotient]    // 
v_cmp_le_u32 vcc, v[\vDivisor], v[\vTmp0]          // 
s_and_b64 vcc, s[\sTmp:\sTmp+1], vcc               // 
v_cndmask_b32 v[\vQuotient], v[\vQuotient], v[\vRemainder], vcc // 
v_cndmask_b32 v[\vQuotient], v[\vTmp1], v[\vQuotient], s[\sTmp:\sTmp+1] // 
v_cmp_ne_i32 vcc, 0x0, v[\vDivisor]                // 
v_cndmask_b32 v[\vQuotient], -1, v[\vQuotient], vcc // final result
v_mul_lo_u32 v[\vRemainder], v[\vQuotient], v[\vDivisor] // 
_v_sub_co_u32 v[\vRemainder], vcc, v[\vDividend], v[\vRemainder] // final result
.endm


	;; [unrolled: 1-line block ×3, first 2 shown]
/******************************************/
/* Allocate Resources                     */
/******************************************/

Cijk_Alik_Bljk_CB_MT144x128x16_MI16x16x4x1_SN_1LDSB1_APM1_AF0EM1_AF1EM1_AMAS0_ASGT_ASLT_ASEM1_BL1_BS1_CLR0_DTVA0_DTVB0_ETB_EPS1_ELFLR0_EMLL0_FSSC10_FL0_GLVWA1_GLVWB2_GRCGA1_GRCGB1_GRVWn1_GSU1_GSUASB_GLS0_IU1_K1_LBSPPA128_LBSPPB128_LPA1_LPB2_LRVW1_MIAV0_MKFGSU256_NTA0_NTB0_NTC4_NTD4_NEPBS4_NLCA1_NLCB1_ONLL1_PK0_PGR2_PLR1_PKA0_SIA3_SS1_SU8_SUM0_SUS256_SPO1_SRVW0_SSO4_SVW1_TSGRA0_TSGRB0_TT9_32_TLDS1_UMLDSA1_UMLDSB1_USFGROn1_VAW1_VSn1_VW1_VWB1_VFLRP0_WSGRA0_WSGRB0_WG16_16_1_WGMn36_preloaded: // Kernel start when preloading
s_setprio 3                                        // optimization store

/* Load Kernel Args */
_s_load_b512 s[24:39], s[sgprKernArgAddress:sgprKernArgAddress+1], 0x0 // 
_s_load_b512 s[40:55], s[sgprKernArgAddress:sgprKernArgAddress+1], 0x40 // 
_s_load_b64 s[56:57], s[sgprKernArgAddress:sgprKernArgAddress+1], 0x80 // 
s_mov_b32 m0, 0x9500                               // LDS clamp at 38144 bytes
v_mov_b32 v[vgprSerial], v0                        // thread serial id

/******************************************/
/* Local Read Addresses                   */
/******************************************/


/* local read addresses: tile assignments a/b */

/*lr0I*/
v_and_b32 v1, 63, v[vgprSerial]                    // 0. thread id in wave: wtid = tid % wavelength(64)
v_and_b32 v0, 15, v1                               // 1. N offset: nIdx = wtid % MI_N(16)
v_lshlrev_b32 v0, 0x4, v0                          // 1. N offset: nOffset = nIdx * nStride(16)
                                                   // 2. block offset: bnIdx = bnIdx % num1DBlocks(1) is 0. do nothing
                                                   // 4. apply VectorWidth: bnOffset = bnOffset * vw(1) (multiplier is 1, do nothing)
v_lshrrev_b32 v1, 4, v1                            // 5. K offset: kIdx = wtid / (MIN(16) * MIBB(1))
                                                   // 5. K offset: lrKOffset = kIdx * mStride(1) (multiplier is 1, do nothing)
_v_add_u32 v0, v1, v0                              // 6. offset in wave: lrOffset = bnOffset + lrKOffset
/*lr1J*/
v_and_b32 v2, 63, v[vgprSerial]                    // 0. thread id in wave: wtid = tid % wavelength(64)
v_and_b32 v1, 15, v2                               // 1. N offset: nIdx = wtid % MI_N(16)
v_lshlrev_b32 v1, 0x4, v1                          // 1. N offset: nOffset = nIdx * nStride(16)
                                                   // 2. block offset: bnIdx = bnIdx % num1DBlocks(1) is 0. do nothing
                                                   // 4. apply VectorWidth: bnOffset = bnOffset * vw(1) (multiplier is 1, do nothing)
v_lshrrev_b32 v2, 4, v2                            // 5. K offset: kIdx = wtid / (MIN(16) * MIBB(1))
                                                   // 5. K offset: lrKOffset = kIdx * mStride(1) (multiplier is 1, do nothing)
_v_add_u32 v1, v2, v1                              // 6. offset in wave: lrOffset = bnOffset + lrKOffset
v_lshrrev_b32 v3, 6, v[vgprSerial]                 // 7. wave offset in N dimen: wtid = tid / dividedForWaveId(64)
v_and_b32 v2, 3, v3                                // 7. wave offset in M dimen: wtid0 = wtid / num1DWaves(4)
v_lshlrev_b32 v2, 0x8, v2                          // 7. wave offset in M dimen: wOffset = wtid0 * W0Stride(256)
_v_add_u32 v1, v2, v1                              // 8. final local read offset: flrOffset = lrOffset + WOffset


/* local read addresses: final offsets a */

v_lshlrev_b32 v[vgprLocalReadAddrA], 0x3, v0       // Final Offset: offset = (lro0)*bpe
v_lshrrev_b32 v0, 7, v[vgprLocalReadAddrA]         // Final Offset: padding 1 per block 128
v_lshlrev_b32 v0, 0x3, v0                          // Final Offset: padding 1 per block 128
_v_add_u32 v[vgprLocalReadAddrA], v0, v[vgprLocalReadAddrA] // Final Offset: add padding 1 per block 128


/* local read addresses: final offsets b */

v_lshlrev_b32 v[vgprLocalReadAddrB], 0x3, v1       // Final Offset: offset = (lro1)*bpe
v_lshrrev_b32 v0, 7, v[vgprLocalReadAddrB]         // Final Offset: padding 2 per block 128
v_lshlrev_b32 v0, 0x4, v0                          // Final Offset: padding 2 per block 128
_v_add_u32 v[vgprLocalReadAddrB], v0, v[vgprLocalReadAddrB] // Final Offset: add padding 2 per block 128


/* local read addresses: declare addresses a */

/* N/A */


/* local read addresses: declare addresses b */

_v_add_co_u32 v[vgprLocalReadAddrB+0], vcc, 0x4d00, v[vgprLocalReadAddrB+0] //  += LdsOffsetB (lower)


/* global read addresses: tile offset assignment a */

/* LVCA = 16 */
/* v0 = (local)groA-tile = serial/LVCA (note (wgA*MTA) will be added to SRD) */
/* v1 = groA-unroll = serial%LVCA */
v_lshrrev_b32 v0, 4, v[vgprSerial]                 // v0 = v[vgprSerial] / 16
v_and_b32 v1, 15, v[vgprSerial]                    // v1 = v[vgprSerial] % 16
/* gro-unroll *= glvw */
                                                   // v1 = v1 * 1 (multiplier is 1, do nothing)


/* global read addresses: tile offset assignment b */

/* LVCB = 8 */
/* v2 = (local)groB-tile = serial/LVCB (note (wgB*MTB) will be added to SRD) */
/* v3 = groB-unroll = serial%LVCB */
v_lshrrev_b32 v2, 3, v[vgprSerial]                 // v2 = v[vgprSerial] / 8
v_and_b32 v3, 7, v[vgprSerial]                     // v3 = v[vgprSerial] % 8
/* gro-unroll *= glvw */
v_lshlrev_b32 v3, 0x1, v3                          // v3 = v3 * 2


/******************************************/
/* Local Write Addresses                  */
/******************************************/

/* lwaTileAssignmentA = v0 */

/* lwaTileAssignmentB = v2 */

/* lwaUnrollAssignmentA = v1 */

/* lwaUnrollAssignmentB = v3 */


/* local write addresses: first offset a */

v_mul_u32_u24 v[vgprLocalWriteAddrA], 0x10, v0     // lwAL**(DepthU_Compute + PAD)
_v_add_lshl_u32 v[vgprLocalWriteAddrA], v1, v[vgprLocalWriteAddrA], 0x3 // lwFOA = (lwAA + lwAL*(DepthU+PAD))*bpe
v_lshrrev_b32 v4, 7, v[vgprLocalWriteAddrA]        // padding 1 per block 128
v_lshlrev_b32 v4, 0x3, v4                          // padding 1 per block 128
_v_add_u32 v[vgprLocalWriteAddrA], v4, v[vgprLocalWriteAddrA] // add padding 1 per block 128


/* local write addresses: first offset b */

v_mul_u32_u24 v[vgprLocalWriteAddrB], 0x10, v2     // lwBL**(DepthU_Compute + PAD)
_v_add_lshl_u32 v[vgprLocalWriteAddrB], v3, v[vgprLocalWriteAddrB], 0x3 // lwFOB = (lwBB + lwBL*(DepthU+PAD))*bpe
v_lshrrev_b32 v4, 7, v[vgprLocalWriteAddrB]        // padding 2 per block 128
v_lshlrev_b32 v4, 0x4, v4                          // padding 2 per block 128
_v_add_u32 v[vgprLocalWriteAddrB], v4, v[vgprLocalWriteAddrB] // add padding 2 per block 128
_v_add_co_u32 v[vgprLocalWriteAddrB], vcc, 0x4d00, v[vgprLocalWriteAddrB] // lwFOB = lwB1J + lwBL*MT1J + LDS_OFFSET_B=2464*8


	;; [unrolled: 1-line block ×7, first 2 shown]
s_waitcnt lgkmcnt(0)                               // wait for 136 bytes of kern args
s_mov_b64 s[sgprSrdC+0:sgprSrdC+0+1], s[sgprAddressC+0:sgprAddressC+0+1] // copy addressC
s_mov_b64 s[sgprSrdD+0:sgprSrdD+0+1], s[sgprAddressD+0:sgprAddressD+0+1] // copy addressD
s_sub_u32 s[sgprSrdA+0], s[sgprAddressA+0], 8      // pre-pad to make room for possible pointer shift
s_subb_u32 s[sgprSrdA+1], s[sgprAddressA+1], 0     // pre-pad to make room for possible pointer shift
s_sub_u32 s[sgprSrdB+0], s[sgprAddressB+0], 16     // pre-pad to make room for possible pointer shift
s_subb_u32 s[sgprSrdB+1], s[sgprAddressB+1], 0     // pre-pad to make room for possible pointer shift

.set AddressD, UNDEF
.set AddressC, UNDEF
.set AddressA, UNDEF
.set AddressB, UNDEF

/* Short circuit condition if Alpha == 0, then sumDims=0 */
v_cmp_eq_f32 vcc, s[sgprAlpha], 0.0                // Alpha.real == 0.0f ?
s_cbranch_vccz label_AlphaNonZero                  // branch if Alpha.real != 0
v_cmp_eq_f32 vcc, s[sgprAlpha+1], 0.0              // Alpha.imag == 0.0f ?
s_cbranch_vccz label_AlphaNonZero                  // branch if Alpha.imag != 0
s_mov_b32 s[sgprSizesSum+0], 0x0                   // Set summation dim=0 if Alpha == 0
label_AlphaNonZero:


	;; [unrolled: 1-line block ×3, first 2 shown]
/******************************************/
/* Begin setupNewTile, isPap=False           */
/******************************************/


/* global read addresses: work-group */

/* graWorkGroup mapping */


/* global read addresses: unroll assignment a */

/* v1 */


/* global read addresses: unroll assignment b */

/* v3 */


/* global read addresses: other free assignments */

/* s[sgprWorkGroup2] */


/* global read addresses: tile offsets a */


	;; [unrolled: 1-line block ×3, first 2 shown]
/* global read addresses: tile offsets b */


	;; [unrolled: 1-line block ×3, first 2 shown]
/* global read addresses: unroll offsets a */


	;; [unrolled: 1-line block ×3, first 2 shown]
/* global read addresses: unroll offsets b */


	;; [unrolled: 1-line block ×3, first 2 shown]
/* global read addresses: branch a */



/* global read addresses: branch b */


	;; [unrolled: 1-line block ×3, first 2 shown]
/* global read addresses: final offsets a */

GLOBAL_OFFSET_A vgprGlobalReadOffsetA+0,  1,  0, 4 // gROA_0_0_0_0
s_mul_i32 s[sgprScalarGlobalReadOffsetA+0], s[sgprStrideA0I], 16 // compute offset diff (scaled tileDim)
s_lshl_b32 s[sgprScalarGlobalReadOffsetA+0], s[sgprScalarGlobalReadOffsetA+0], 0x3 // scalar offset *= bytes/element
s_mul_i32 s[sgprScalarGlobalReadOffsetA+1], s[sgprStrideA0I], 32 // compute offset diff (scaled tileDim)
s_lshl_b32 s[sgprScalarGlobalReadOffsetA+1], s[sgprScalarGlobalReadOffsetA+1], 0x3 // scalar offset *= bytes/element
s_mul_i32 s[sgprScalarGlobalReadOffsetA+2], s[sgprStrideA0I], 48 // compute offset diff (scaled tileDim)
s_lshl_b32 s[sgprScalarGlobalReadOffsetA+2], s[sgprScalarGlobalReadOffsetA+2], 0x3 // scalar offset *= bytes/element
s_mul_i32 s[sgprScalarGlobalReadOffsetA+3], s[sgprStrideA0I], 64 // compute offset diff (scaled tileDim)
s_lshl_b32 s[sgprScalarGlobalReadOffsetA+3], s[sgprScalarGlobalReadOffsetA+3], 0x3 // scalar offset *= bytes/element
s_mul_i32 s[sgprScalarGlobalReadOffsetA+4], s[sgprStrideA0I], 80 // compute offset diff (scaled tileDim)
s_lshl_b32 s[sgprScalarGlobalReadOffsetA+4], s[sgprScalarGlobalReadOffsetA+4], 0x3 // scalar offset *= bytes/element
s_mul_i32 s[sgprScalarGlobalReadOffsetA+5], s[sgprStrideA0I], 96 // compute offset diff (scaled tileDim)
s_lshl_b32 s[sgprScalarGlobalReadOffsetA+5], s[sgprScalarGlobalReadOffsetA+5], 0x3 // scalar offset *= bytes/element
s_mul_i32 s[sgprScalarGlobalReadOffsetA+6], s[sgprStrideA0I], 112 // compute offset diff (scaled tileDim)
s_lshl_b32 s[sgprScalarGlobalReadOffsetA+6], s[sgprScalarGlobalReadOffsetA+6], 0x3 // scalar offset *= bytes/element
s_mul_i32 s[sgprScalarGlobalReadOffsetA+7], s[sgprStrideA0I], 128 // compute offset diff (scaled tileDim)
s_lshl_b32 s[sgprScalarGlobalReadOffsetA+7], s[sgprScalarGlobalReadOffsetA+7], 0x3 // scalar offset *= bytes/element


/* global read addresses: final offsets b */

GLOBAL_OFFSET_B vgprGlobalReadOffsetB+0,  3,  2, 4 // gROB_0_0_0_0
s_mul_i32 s[sgprScalarGlobalReadOffsetB+0], s[sgprStrideB1J], 32 // compute offset diff (scaled tileDim)
s_lshl_b32 s[sgprScalarGlobalReadOffsetB+0], s[sgprScalarGlobalReadOffsetB+0], 0x3 // scalar offset *= bytes/element
s_mul_i32 s[sgprScalarGlobalReadOffsetB+1], s[sgprStrideB1J], 64 // compute offset diff (scaled tileDim)
s_lshl_b32 s[sgprScalarGlobalReadOffsetB+1], s[sgprScalarGlobalReadOffsetB+1], 0x3 // scalar offset *= bytes/element
s_mul_i32 s[sgprScalarGlobalReadOffsetB+2], s[sgprStrideB1J], 96 // compute offset diff (scaled tileDim)
s_lshl_b32 s[sgprScalarGlobalReadOffsetB+2], s[sgprScalarGlobalReadOffsetB+2], 0x3 // scalar offset *= bytes/element


/* global read addresses: addresses a */

/* max read offset = size[n] * stride[n-1] */
s_mul_hi_u32 s75, s[sgprWorkGroup0], 144           // WorkGroup[01] * MT
s_mul_i32 s74, s[sgprWorkGroup0], 144              // WorkGroup[01] * MT
s_mul_hi_u32 s75, s74, s[sgprStrideA0I]            // tlu=0, scaled tile-offset by stride
s_mul_i32 s74, s74, s[sgprStrideA0I]               // tlu=0, scaled tile-offset by stride
s_sub_u32 s[sgprShadowLimitA+0], s[sgprTensor2dSizeA], s74 // sub tileStart
s_subb_u32 s[sgprShadowLimitA+1], s[sgprTensor2dSizeA+1], s75 // sub tileStart
s_lshl_b64 s[sgprShadowLimitA:sgprShadowLimitA+1], s[sgprShadowLimitA:sgprShadowLimitA+1], 0x3 // Set limit to use bytes
s_add_u32 s[sgprShadowLimitA+0], s[sgprShadowLimitA+0], 8 // extend limit for pre-pad
s_addc_u32 s[sgprShadowLimitA+1], s[sgprShadowLimitA+1], 0 // extend limit for pre-pad
s_cmp_eq_u32 s[sgprShadowLimitA+1], 0              // are we within 2^32?
s_cselect_b32 s[sgprSrdA+2], s[sgprShadowLimitA+0], BufferLimitA // Move shadow to real if we are within 2^32
s_mul_hi_u32 s73, s[sgprStrideAK], s[sgprWorkGroup2] // Stride*WG
s_mul_i32 s72, s[sgprStrideAK], s[sgprWorkGroup2]  // Stride*WG
s_add_u32 s74, s74, s72                            // accum wg term to tilestart
s_addc_u32 s75, s75, s73                           // accum wg term to tilestart
s_lshl_b64 s[74:75], s[74:75], 0x3                 // tileStart *= BPE
s_add_u32 s[sgprSrdA+0], s[sgprSrdA+0], s74        // SRD base = Address+ tileStart0
s_addc_u32 s[sgprSrdA+1], s[sgprSrdA+1], s75       // SRD base = Address+ tileStart1
s_mov_b32 s[sgprSrdA+3], Srd127_96                 // Set bits 127_96 in SRD


/* global read addresses: addresses b */

/* max read offset = size[n] * stride[n-1] */
s_mul_hi_u32 s75, s[sgprWorkGroup1], 128           // WorkGroup[01] * MT
s_mul_i32 s74, s[sgprWorkGroup1], 128              // WorkGroup[01] * MT
s_mul_hi_u32 s75, s74, s[sgprStrideB1J]            // tlu=0, scaled tile-offset by stride
s_mul_i32 s74, s74, s[sgprStrideB1J]               // tlu=0, scaled tile-offset by stride
s_sub_u32 s[sgprShadowLimitB+0], s[sgprTensor2dSizeB], s74 // sub tileStart
s_subb_u32 s[sgprShadowLimitB+1], s[sgprTensor2dSizeB+1], s75 // sub tileStart
s_lshl_b64 s[sgprShadowLimitB:sgprShadowLimitB+1], s[sgprShadowLimitB:sgprShadowLimitB+1], 0x3 // Set limit to use bytes
s_add_u32 s[sgprShadowLimitB+0], s[sgprShadowLimitB+0], 16 // extend limit for pre-pad
s_addc_u32 s[sgprShadowLimitB+1], s[sgprShadowLimitB+1], 0 // extend limit for pre-pad
s_cmp_eq_u32 s[sgprShadowLimitB+1], 0              // are we within 2^32?
s_cselect_b32 s[sgprSrdB+2], s[sgprShadowLimitB+0], BufferLimitB // Move shadow to real if we are within 2^32
s_mul_hi_u32 s73, s[sgprStrideBK], s[sgprWorkGroup2] // Stride*WG
s_mul_i32 s72, s[sgprStrideBK], s[sgprWorkGroup2]  // Stride*WG
s_add_u32 s74, s74, s72                            // accum wg term to tilestart
s_addc_u32 s75, s75, s73                           // accum wg term to tilestart
s_lshl_b64 s[74:75], s[74:75], 0x3                 // tileStart *= BPE
s_add_u32 s[sgprSrdB+0], s[sgprSrdB+0], s74        // SRD base = Address+ tileStart0
s_addc_u32 s[sgprSrdB+1], s[sgprSrdB+1], s75       // SRD base = Address+ tileStart1
s_mov_b32 s[sgprSrdB+3], Srd127_96                 // Set bits 127_96 in SRD


/* global read addresses: increments a */

s_mov_b32 s[sgprGlobalReadIncsA+0], DepthU*BpeA    // incrA (unrollIdx)


/* global read addresses: increments b */

s_mov_b32 s[sgprGlobalReadIncsB+0], DepthU*BpeB    // incrB (unrollIdx)

/* declare loop num iterations */


s_lshr_b32 s[sgprLoopCounterL], s[sgprSizesSum+0], 4 // s[sgprLoopCounterL] = s[sgprSizesSum+0] / 16
s_mov_b32 s[sgprOrigLoopCounter], s[sgprLoopCounterL] // copy loop counter

s_and_b32 s[sgprStaggerUIter], s[sgprOrigStaggerUIter], s[sgprWorkGroup0] // Compute actual stagger start for this tile
s_lshl_b32 s[sgprStaggerUIter], s[sgprStaggerUIter], 1 // shift by StaggerUStride


/* SRDs += (StaggerUIter) * GlobalReadIncsA+0 */
s_mul_hi_u32 s73, s[sgprStaggerUIter], s[sgprGlobalReadIncsA+0] //  stagger byte offset
s_mul_i32 s72, s[sgprStaggerUIter], s[sgprGlobalReadIncsA+0] //  stagger byte offset
s_mul_hi_u32 s[sgprWrapUA+1], s[sgprLoopCounterL], s[sgprGlobalReadIncsA+0] // Number of bytes accessed by the unroll loop
s_mul_i32 s[sgprWrapUA+0], s[sgprLoopCounterL], s[sgprGlobalReadIncsA+0] // Number of bytes accessed by the unroll loop
s_sub_u32 s[sgprWrapUA+0], s[sgprGlobalReadIncsA+0], s[sgprWrapUA+0] // remove one iteration
s_subb_u32 s[sgprWrapUA+1], 0, s[sgprWrapUA+1]     // remove one iteration
s_add_u32 s[sgprSrdA+0], s[sgprSrdA+0], s72        // gra SRD += inc(lower)
s_addc_u32  s[sgprSrdA+1], s[sgprSrdA+1], s73      // gra SRD += inc(upper)
s_sub_u32 s[sgprShadowLimitA+0], s[sgprShadowLimitA+0], s72 // limit -= inc)
s_subb_u32 s[sgprShadowLimitA+1], s[sgprShadowLimitA+1], s73 // limit -= inc)
s_cmp_eq_u32 s[sgprShadowLimitA+1], 0              // are we within 2^32?
s_cselect_b32 s[sgprSrdA+2], s[sgprShadowLimitA+0], BufferLimitA // Move shadow to real if we are within 2^32


/* SRDs += (StaggerUIter) * GlobalReadIncsB+0 */
s_mul_hi_u32 s73, s[sgprStaggerUIter], s[sgprGlobalReadIncsB+0] //  stagger byte offset
s_mul_i32 s72, s[sgprStaggerUIter], s[sgprGlobalReadIncsB+0] //  stagger byte offset
s_mul_hi_u32 s[sgprWrapUB+1], s[sgprLoopCounterL], s[sgprGlobalReadIncsB+0] // Number of bytes accessed by the unroll loop
s_mul_i32 s[sgprWrapUB+0], s[sgprLoopCounterL], s[sgprGlobalReadIncsB+0] // Number of bytes accessed by the unroll loop
s_sub_u32 s[sgprWrapUB+0], s[sgprGlobalReadIncsB+0], s[sgprWrapUB+0] // remove one iteration
s_subb_u32 s[sgprWrapUB+1], 0, s[sgprWrapUB+1]     // remove one iteration
s_add_u32 s[sgprSrdB+0], s[sgprSrdB+0], s72        // gra SRD += inc(lower)
s_addc_u32  s[sgprSrdB+1], s[sgprSrdB+1], s73      // gra SRD += inc(upper)
s_sub_u32 s[sgprShadowLimitB+0], s[sgprShadowLimitB+0], s72 // limit -= inc)
s_subb_u32 s[sgprShadowLimitB+1], s[sgprShadowLimitB+1], s73 // limit -= inc)
s_cmp_eq_u32 s[sgprShadowLimitB+1], 0              // are we within 2^32?
s_cselect_b32 s[sgprSrdB+2], s[sgprShadowLimitB+0], BufferLimitB // Move shadow to real if we are within 2^32
s_add_u32 s[sgprStaggerUIter], s[sgprStaggerUIter], 2 // Subtract (PGR-1); StaggerUIter now contains target iteration to wrap

/* local read addresses: init pointers a */


/* localReadInitPointers */

/* local read addresses: init pointers b */


/* localReadInitPointers */


/* prefetch: global -> local */

s_cmp_eq_u32 s[sgprLoopCounterL], 0                // at last iteration?
s_setprio 0                                        // optimization store
s_cbranch_scc1 ShadowInitStart_10                  // skip to ShadowInitStart iter b/c numIter==0


_buffer_load_b64 v[vgprG2LA+0:vgprG2LA+0+1], v[vgprGlobalReadOffsetA+0], s[sgprSrdA:sgprSrdA+3], 0, offen offset:0 // G -> Reg 0_0_0_0
_buffer_load_b64 v[vgprG2LA+2:vgprG2LA+2+1], v[vgprGlobalReadOffsetA+0], s[sgprSrdA:sgprSrdA+3], s[sgprScalarGlobalReadOffsetA+0], offen offset:0 // G -> Reg 0_0_1_0
_buffer_load_b64 v[vgprG2LA+4:vgprG2LA+4+1], v[vgprGlobalReadOffsetA+0], s[sgprSrdA:sgprSrdA+3], s[sgprScalarGlobalReadOffsetA+1], offen offset:0 // G -> Reg 0_0_2_0
_buffer_load_b64 v[vgprG2LA+6:vgprG2LA+6+1], v[vgprGlobalReadOffsetA+0], s[sgprSrdA:sgprSrdA+3], s[sgprScalarGlobalReadOffsetA+2], offen offset:0 // G -> Reg 0_0_3_0
_buffer_load_b64 v[vgprG2LA+8:vgprG2LA+8+1], v[vgprGlobalReadOffsetA+0], s[sgprSrdA:sgprSrdA+3], s[sgprScalarGlobalReadOffsetA+3], offen offset:0 // G -> Reg 0_0_4_0
_buffer_load_b64 v[vgprG2LA+10:vgprG2LA+10+1], v[vgprGlobalReadOffsetA+0], s[sgprSrdA:sgprSrdA+3], s[sgprScalarGlobalReadOffsetA+4], offen offset:0 // G -> Reg 0_0_5_0
_buffer_load_b64 v[vgprG2LA+12:vgprG2LA+12+1], v[vgprGlobalReadOffsetA+0], s[sgprSrdA:sgprSrdA+3], s[sgprScalarGlobalReadOffsetA+5], offen offset:0 // G -> Reg 0_0_6_0
_buffer_load_b64 v[vgprG2LA+14:vgprG2LA+14+1], v[vgprGlobalReadOffsetA+0], s[sgprSrdA:sgprSrdA+3], s[sgprScalarGlobalReadOffsetA+6], offen offset:0 // G -> Reg 0_0_7_0
_buffer_load_b64 v[vgprG2LA+16:vgprG2LA+16+1], v[vgprGlobalReadOffsetA+0], s[sgprSrdA:sgprSrdA+3], s[sgprScalarGlobalReadOffsetA+7], offen offset:0 // G -> Reg 0_0_8_0


_buffer_load_b128 v[vgprG2LB+0:vgprG2LB+0+3], v[vgprGlobalReadOffsetB+0], s[sgprSrdB:sgprSrdB+3], 0, offen offset:0 // G -> Reg 0_0_0_0
_buffer_load_b128 v[vgprG2LB+4:vgprG2LB+4+3], v[vgprGlobalReadOffsetB+0], s[sgprSrdB:sgprSrdB+3], s[sgprScalarGlobalReadOffsetB+0], offen offset:0 // G -> Reg 0_0_1_0
_buffer_load_b128 v[vgprG2LB+8:vgprG2LB+8+3], v[vgprGlobalReadOffsetB+0], s[sgprSrdB:sgprSrdB+3], s[sgprScalarGlobalReadOffsetB+1], offen offset:0 // G -> Reg 0_0_2_0
_buffer_load_b128 v[vgprG2LB+12:vgprG2LB+12+3], v[vgprGlobalReadOffsetB+0], s[sgprSrdB:sgprSrdB+3], s[sgprScalarGlobalReadOffsetB+2], offen offset:0 // G -> Reg 0_0_3_0


/* global read inc A loopL */
s_add_u32 s74, s[sgprLoopCounterL], 1              // remove pf(1)
s_cmp_eq_u32 s[sgprStaggerUIter], s74              // Is this wrapIter? (pf)
s_cselect_b32 s72, s[sgprWrapUA+0], s[sgprGlobalReadIncsA+0] // incLower <- ?
s_cselect_b32 s73, s[sgprWrapUA+1], 0              // incUpper <- ?
s_add_u32 s[sgprSrdA+0], s[sgprSrdA+0], s72        // gra SRD += inc(lower)
s_addc_u32  s[sgprSrdA+1], s[sgprSrdA+1], s73      // gra SRD += inc(upper)
s_sub_u32 s[sgprShadowLimitA+0], s[sgprShadowLimitA+0], s72 // limit -= inc)
s_subb_u32 s[sgprShadowLimitA+1], s[sgprShadowLimitA+1], s73 // limit -= inc)
s_cmp_eq_u32 s[sgprShadowLimitA+1], 0              // are we within 2^32?
s_cselect_b32 s[sgprSrdA+2], s[sgprShadowLimitA+0], BufferLimitA // Move shadow to real if we are within 2^32

/* global read inc B loopL */
s_add_u32 s74, s[sgprLoopCounterL], 1              // remove pf(1)
s_cmp_eq_u32 s[sgprStaggerUIter], s74              // Is this wrapIter? (pf)
s_cselect_b32 s72, s[sgprWrapUB+0], s[sgprGlobalReadIncsB+0] // incLower <- ?
s_cselect_b32 s73, s[sgprWrapUB+1], 0              // incUpper <- ?
s_add_u32 s[sgprSrdB+0], s[sgprSrdB+0], s72        // gra SRD += inc(lower)
s_addc_u32  s[sgprSrdB+1], s[sgprSrdB+1], s73      // gra SRD += inc(upper)
s_sub_u32 s[sgprShadowLimitB+0], s[sgprShadowLimitB+0], s72 // limit -= inc)
s_subb_u32 s[sgprShadowLimitB+1], s[sgprShadowLimitB+1], s73 // limit -= inc)
s_cmp_eq_u32 s[sgprShadowLimitB+1], 0              // are we within 2^32?
s_cselect_b32 s[sgprSrdB+2], s[sgprShadowLimitB+0], BufferLimitB // Move shadow to real if we are within 2^32


/******************************************/
/* End setupNewTile, isPap=False             */
/******************************************/

ShadowInitStart_10: // 

s_mov_b32 s[sgprSrdD+2], BufferOOB                 // 
s_mov_b32 s[sgprSrdD+3], Srd127_96                 // Set bits 127_96 in post-loop SRD

s_mov_b32 s[sgprSrdC+2], BufferOOB                 // 
s_mov_b32 s[sgprSrdC+3], Srd127_96                 // Set bits 127_96 in post-loop SRD


s_mul_i32 s74, MT1, s[sgprWorkGroup1]              // <- wg1*MT1
s_mul_hi_u32 s73, s74, s[sgprStrideC1J]            // CScale s74 by Stride
s_mul_i32 s72, s74, s[sgprStrideC1J]               // CScale s74 by Stride
s_lshl_b64 s[72:73], s[72:73], 3                   // scale by bpe
s_add_u32 s[sgprSrdC+0], s[sgprSrdC+0], s72        // add lo to SRD
s_addc_u32 s[sgprSrdC+1], s[sgprSrdC+1], s73       // add hi to SRD
s_mul_hi_u32 s73, s74, s[sgprStrideD1J]            // Scale s74 by Stride
s_mul_i32 s72, s74, s[sgprStrideD1J]               // Scale s74 by Stride
s_lshl_b64 s[72:73], s[72:73], 3                   // scale by bpe
s_add_u32 s[sgprSrdD+0], s[sgprSrdD+0], s72        // add lo to SRD
s_addc_u32 s[sgprSrdD+1], s[sgprSrdD+1], s73       // add hi to SRD

s_mul_hi_u32 s73, s[sgprWorkGroup2], s[sgprStrideCK] // CScale s[sgprWorkGroup2] by Stride
s_mul_i32 s72, s[sgprWorkGroup2], s[sgprStrideCK]  // CScale s[sgprWorkGroup2] by Stride
s_lshl_b64 s[72:73], s[72:73], 3                   // scale by bpe
s_add_u32 s[sgprSrdC+0], s[sgprSrdC+0], s72        // add lo to SRD
s_addc_u32 s[sgprSrdC+1], s[sgprSrdC+1], s73       // add hi to SRD
s_mul_hi_u32 s73, s[sgprWorkGroup2], s[sgprStrideDK] // Scale s[sgprWorkGroup2] by Stride
s_mul_i32 s72, s[sgprWorkGroup2], s[sgprStrideDK]  // Scale s[sgprWorkGroup2] by Stride
s_lshl_b64 s[72:73], s[72:73], 3                   // scale by bpe
s_add_u32 s[sgprSrdD+0], s[sgprSrdD+0], s72        // add lo to SRD
s_addc_u32 s[sgprSrdD+1], s[sgprSrdD+1], s73       // add hi to SRD


	;; [unrolled: 1-line block ×3, first 2 shown]
/* initC: remove C-tile 0-0 from pool */

/* initC: remove AB-tile 0-44 from pool */
v_accvgpr_write acc0, 0x0                          // initC
v_accvgpr_write acc1, 0x0                          // initC
v_accvgpr_write acc2, 0x0                          // initC
v_accvgpr_write acc3, 0x0                          // initC
v_accvgpr_write acc4, 0x0                          // initC
v_accvgpr_write acc5, 0x0                          // initC
v_accvgpr_write acc6, 0x0                          // initC
v_accvgpr_write acc7, 0x0                          // initC
v_accvgpr_write acc8, 0x0                          // initC
v_accvgpr_write acc9, 0x0                          // initC
v_accvgpr_write acc10, 0x0                         // initC
v_accvgpr_write acc11, 0x0                         // initC
v_accvgpr_write acc12, 0x0                         // initC
v_accvgpr_write acc13, 0x0                         // initC
v_accvgpr_write acc14, 0x0                         // initC
v_accvgpr_write acc15, 0x0                         // initC
v_accvgpr_write acc16, 0x0                         // initC
v_accvgpr_write acc17, 0x0                         // initC
v_accvgpr_write acc18, 0x0                         // initC
v_accvgpr_write acc19, 0x0                         // initC
v_accvgpr_write acc20, 0x0                         // initC
v_accvgpr_write acc21, 0x0                         // initC
v_accvgpr_write acc22, 0x0                         // initC
v_accvgpr_write acc23, 0x0                         // initC
v_accvgpr_write acc24, 0x0                         // initC
v_accvgpr_write acc25, 0x0                         // initC
v_accvgpr_write acc26, 0x0                         // initC
v_accvgpr_write acc27, 0x0                         // initC
v_accvgpr_write acc28, 0x0                         // initC
v_accvgpr_write acc29, 0x0                         // initC
v_accvgpr_write acc30, 0x0                         // initC
v_accvgpr_write acc31, 0x0                         // initC
v_accvgpr_write acc32, 0x0                         // initC
v_accvgpr_write acc33, 0x0                         // initC
v_accvgpr_write acc34, 0x0                         // initC
v_accvgpr_write acc35, 0x0                         // initC
v_accvgpr_write acc36, 0x0                         // initC
v_accvgpr_write acc37, 0x0                         // initC
v_accvgpr_write acc38, 0x0                         // initC
v_accvgpr_write acc39, 0x0                         // initC
v_accvgpr_write acc40, 0x0                         // initC
v_accvgpr_write acc41, 0x0                         // initC
v_accvgpr_write acc42, 0x0                         // initC
v_accvgpr_write acc43, 0x0                         // initC
v_accvgpr_write acc44, 0x0                         // initC
v_accvgpr_write acc45, 0x0                         // initC
v_accvgpr_write acc46, 0x0                         // initC
v_accvgpr_write acc47, 0x0                         // initC
v_accvgpr_write acc48, 0x0                         // initC
v_accvgpr_write acc49, 0x0                         // initC
v_accvgpr_write acc50, 0x0                         // initC
v_accvgpr_write acc51, 0x0                         // initC
v_accvgpr_write acc52, 0x0                         // initC
v_accvgpr_write acc53, 0x0                         // initC
v_accvgpr_write acc54, 0x0                         // initC
v_accvgpr_write acc55, 0x0                         // initC
v_accvgpr_write acc56, 0x0                         // initC
v_accvgpr_write acc57, 0x0                         // initC
v_accvgpr_write acc58, 0x0                         // initC
v_accvgpr_write acc59, 0x0                         // initC
v_accvgpr_write acc60, 0x0                         // initC
v_accvgpr_write acc61, 0x0                         // initC
v_accvgpr_write acc62, 0x0                         // initC
v_accvgpr_write acc63, 0x0                         // initC
v_accvgpr_write acc64, 0x0                         // initC
v_accvgpr_write acc65, 0x0                         // initC
v_accvgpr_write acc66, 0x0                         // initC
v_accvgpr_write acc67, 0x0                         // initC
v_accvgpr_write acc68, 0x0                         // initC
v_accvgpr_write acc69, 0x0                         // initC
v_accvgpr_write acc70, 0x0                         // initC
v_accvgpr_write acc71, 0x0                         // initC
v_accvgpr_write acc72, 0x0                         // initC
v_accvgpr_write acc73, 0x0                         // initC
v_accvgpr_write acc74, 0x0                         // initC
v_accvgpr_write acc75, 0x0                         // initC
v_accvgpr_write acc76, 0x0                         // initC
v_accvgpr_write acc77, 0x0                         // initC
v_accvgpr_write acc78, 0x0                         // initC
v_accvgpr_write acc79, 0x0                         // initC
v_accvgpr_write acc80, 0x0                         // initC
v_accvgpr_write acc81, 0x0                         // initC
v_accvgpr_write acc82, 0x0                         // initC
v_accvgpr_write acc83, 0x0                         // initC
v_accvgpr_write acc84, 0x0                         // initC
v_accvgpr_write acc85, 0x0                         // initC
v_accvgpr_write acc86, 0x0                         // initC
v_accvgpr_write acc87, 0x0                         // initC
v_accvgpr_write acc88, 0x0                         // initC
v_accvgpr_write acc89, 0x0                         // initC
v_accvgpr_write acc90, 0x0                         // initC
v_accvgpr_write acc91, 0x0                         // initC
v_accvgpr_write acc92, 0x0                         // initC
v_accvgpr_write acc93, 0x0                         // initC
v_accvgpr_write acc94, 0x0                         // initC
v_accvgpr_write acc95, 0x0                         // initC
v_accvgpr_write acc96, 0x0                         // initC
v_accvgpr_write acc97, 0x0                         // initC
v_accvgpr_write acc98, 0x0                         // initC
v_accvgpr_write acc99, 0x0                         // initC
v_accvgpr_write acc100, 0x0                        // initC
v_accvgpr_write acc101, 0x0                        // initC
v_accvgpr_write acc102, 0x0                        // initC
v_accvgpr_write acc103, 0x0                        // initC
v_accvgpr_write acc104, 0x0                        // initC
v_accvgpr_write acc105, 0x0                        // initC
v_accvgpr_write acc106, 0x0                        // initC
v_accvgpr_write acc107, 0x0                        // initC
v_accvgpr_write acc108, 0x0                        // initC
v_accvgpr_write acc109, 0x0                        // initC
v_accvgpr_write acc110, 0x0                        // initC
v_accvgpr_write acc111, 0x0                        // initC
v_accvgpr_write acc112, 0x0                        // initC
v_accvgpr_write acc113, 0x0                        // initC
v_accvgpr_write acc114, 0x0                        // initC
v_accvgpr_write acc115, 0x0                        // initC
v_accvgpr_write acc116, 0x0                        // initC
v_accvgpr_write acc117, 0x0                        // initC
v_accvgpr_write acc118, 0x0                        // initC
v_accvgpr_write acc119, 0x0                        // initC
v_accvgpr_write acc120, 0x0                        // initC
v_accvgpr_write acc121, 0x0                        // initC
v_accvgpr_write acc122, 0x0                        // initC
v_accvgpr_write acc123, 0x0                        // initC
v_accvgpr_write acc124, 0x0                        // initC
v_accvgpr_write acc125, 0x0                        // initC
v_accvgpr_write acc126, 0x0                        // initC
v_accvgpr_write acc127, 0x0                        // initC
v_accvgpr_write acc128, 0x0                        // initC
v_accvgpr_write acc129, 0x0                        // initC
v_accvgpr_write acc130, 0x0                        // initC
v_accvgpr_write acc131, 0x0                        // initC
v_accvgpr_write acc132, 0x0                        // initC
v_accvgpr_write acc133, 0x0                        // initC
v_accvgpr_write acc134, 0x0                        // initC
v_accvgpr_write acc135, 0x0                        // initC
v_accvgpr_write acc136, 0x0                        // initC
v_accvgpr_write acc137, 0x0                        // initC
v_accvgpr_write acc138, 0x0                        // initC
v_accvgpr_write acc139, 0x0                        // initC
v_accvgpr_write acc140, 0x0                        // initC
v_accvgpr_write acc141, 0x0                        // initC
v_accvgpr_write acc142, 0x0                        // initC
v_accvgpr_write acc143, 0x0                        // initC

s_cmp_eq_u32 s[sgprLoopCounterL], 0                // at last iteration?

/* after InitC, skip to end of prefetch last iter if numIter==0 */
s_cbranch_scc0 label_NoBranch_11                   // Only branch on scc1
s_getpc_B64 s[72:73]                               // addr of next instr
s_add_i32 s74, PrefetchGlobalLastIterEnd_5, 0x4    // target branch offset
s_add_u32 s72, s72, s74                            // add target branch offset
s_addc_u32 s73, s73, 0                             // add high and carry
s_setpc_b64 s[72:73]                               // branch to PrefetchGlobalLastIterEnd_5
label_NoBranch_11:

s_waitcnt vmcnt(0)                                 // lgkmcnt=-1 vmcnt=0 8wait for global read


/* local write a */
_ds_store_b64 v[vgprLocalWriteAddrA], v[vgprG2LA+0:vgprG2LA+0+1] offset:0 // lwoA_0_0_0_0 = (0*LSCA)*(MT0I+PAD) + (0*LSPA) = 0
_ds_store_b64 v[vgprLocalWriteAddrA], v[vgprG2LA+2:vgprG2LA+2+1] offset:2176 // lwoA_0_0_1_0 = (0*LSCA)*(MT0I+PAD) + (1*LSPA) = 2176
_ds_store_b64 v[vgprLocalWriteAddrA], v[vgprG2LA+4:vgprG2LA+4+1] offset:4352 // lwoA_0_0_2_0 = (0*LSCA)*(MT0I+PAD) + (2*LSPA) = 4352
_ds_store_b64 v[vgprLocalWriteAddrA], v[vgprG2LA+6:vgprG2LA+6+1] offset:6528 // lwoA_0_0_3_0 = (0*LSCA)*(MT0I+PAD) + (3*LSPA) = 6528
_ds_store_b64 v[vgprLocalWriteAddrA], v[vgprG2LA+8:vgprG2LA+8+1] offset:8704 // lwoA_0_0_4_0 = (0*LSCA)*(MT0I+PAD) + (4*LSPA) = 8704
_ds_store_b64 v[vgprLocalWriteAddrA], v[vgprG2LA+10:vgprG2LA+10+1] offset:10880 // lwoA_0_0_5_0 = (0*LSCA)*(MT0I+PAD) + (5*LSPA) = 10880
_ds_store_b64 v[vgprLocalWriteAddrA], v[vgprG2LA+12:vgprG2LA+12+1] offset:13056 // lwoA_0_0_6_0 = (0*LSCA)*(MT0I+PAD) + (6*LSPA) = 13056
_ds_store_b64 v[vgprLocalWriteAddrA], v[vgprG2LA+14:vgprG2LA+14+1] offset:15232 // lwoA_0_0_7_0 = (0*LSCA)*(MT0I+PAD) + (7*LSPA) = 15232
_ds_store_b64 v[vgprLocalWriteAddrA], v[vgprG2LA+16:vgprG2LA+16+1] offset:17408 // lwoA_0_0_8_0 = (0*LSCA)*(MT0I+PAD) + (8*LSPA) = 17408

/* local write b */
_ds_store_b128 v[vgprLocalWriteAddrB], v[vgprG2LB+0:vgprG2LB+0+3] offset:0 // lwoB_0_0_0_0 = (0*LSCB)*(MT1J+PAD) + (0*LSPB) = 0
_ds_store_b128 v[vgprLocalWriteAddrB], v[vgprG2LB+4:vgprG2LB+4+3] offset:4608 // lwoB_0_0_1_0 = (0*LSCB)*(MT1J+PAD) + (1*LSPB) = 4608
_ds_store_b128 v[vgprLocalWriteAddrB], v[vgprG2LB+8:vgprG2LB+8+3] offset:9216 // lwoB_0_0_2_0 = (0*LSCB)*(MT1J+PAD) + (2*LSPB) = 9216
_ds_store_b128 v[vgprLocalWriteAddrB], v[vgprG2LB+12:vgprG2LB+12+3] offset:13824 // lwoB_0_0_3_0 = (0*LSCB)*(MT1J+PAD) + (3*LSPB) = 13824


/* local write swap a */



/* local write swap b */


	;; [unrolled: 1-line block ×4, first 2 shown]
s_cmp_eq_u32 s[sgprLoopCounterL] 0x1               // PGR=2 but only 1 loop
s_cbranch_scc1 label_0012                          // PGR=2 but only 1 loop


_buffer_load_b64 v[vgprG2LA+0:vgprG2LA+0+1], v[vgprGlobalReadOffsetA+0], s[sgprSrdA:sgprSrdA+3], 0, offen offset:0 // G -> Reg 0_0_0_0
_buffer_load_b64 v[vgprG2LA+2:vgprG2LA+2+1], v[vgprGlobalReadOffsetA+0], s[sgprSrdA:sgprSrdA+3], s[sgprScalarGlobalReadOffsetA+0], offen offset:0 // G -> Reg 0_0_1_0
_buffer_load_b64 v[vgprG2LA+4:vgprG2LA+4+1], v[vgprGlobalReadOffsetA+0], s[sgprSrdA:sgprSrdA+3], s[sgprScalarGlobalReadOffsetA+1], offen offset:0 // G -> Reg 0_0_2_0
_buffer_load_b64 v[vgprG2LA+6:vgprG2LA+6+1], v[vgprGlobalReadOffsetA+0], s[sgprSrdA:sgprSrdA+3], s[sgprScalarGlobalReadOffsetA+2], offen offset:0 // G -> Reg 0_0_3_0
_buffer_load_b64 v[vgprG2LA+8:vgprG2LA+8+1], v[vgprGlobalReadOffsetA+0], s[sgprSrdA:sgprSrdA+3], s[sgprScalarGlobalReadOffsetA+3], offen offset:0 // G -> Reg 0_0_4_0
_buffer_load_b64 v[vgprG2LA+10:vgprG2LA+10+1], v[vgprGlobalReadOffsetA+0], s[sgprSrdA:sgprSrdA+3], s[sgprScalarGlobalReadOffsetA+4], offen offset:0 // G -> Reg 0_0_5_0
_buffer_load_b64 v[vgprG2LA+12:vgprG2LA+12+1], v[vgprGlobalReadOffsetA+0], s[sgprSrdA:sgprSrdA+3], s[sgprScalarGlobalReadOffsetA+5], offen offset:0 // G -> Reg 0_0_6_0
_buffer_load_b64 v[vgprG2LA+14:vgprG2LA+14+1], v[vgprGlobalReadOffsetA+0], s[sgprSrdA:sgprSrdA+3], s[sgprScalarGlobalReadOffsetA+6], offen offset:0 // G -> Reg 0_0_7_0
_buffer_load_b64 v[vgprG2LA+16:vgprG2LA+16+1], v[vgprGlobalReadOffsetA+0], s[sgprSrdA:sgprSrdA+3], s[sgprScalarGlobalReadOffsetA+7], offen offset:0 // G -> Reg 0_0_8_0


_buffer_load_b128 v[vgprG2LB+0:vgprG2LB+0+3], v[vgprGlobalReadOffsetB+0], s[sgprSrdB:sgprSrdB+3], 0, offen offset:0 // G -> Reg 0_0_0_0
_buffer_load_b128 v[vgprG2LB+4:vgprG2LB+4+3], v[vgprGlobalReadOffsetB+0], s[sgprSrdB:sgprSrdB+3], s[sgprScalarGlobalReadOffsetB+0], offen offset:0 // G -> Reg 0_0_1_0
_buffer_load_b128 v[vgprG2LB+8:vgprG2LB+8+3], v[vgprGlobalReadOffsetB+0], s[sgprSrdB:sgprSrdB+3], s[sgprScalarGlobalReadOffsetB+1], offen offset:0 // G -> Reg 0_0_2_0
_buffer_load_b128 v[vgprG2LB+12:vgprG2LB+12+3], v[vgprGlobalReadOffsetB+0], s[sgprSrdB:sgprSrdB+3], s[sgprScalarGlobalReadOffsetB+2], offen offset:0 // G -> Reg 0_0_3_0

label_0012:                                        // 

s_waitcnt lgkmcnt(0)                               // lgkmcnt=0 vmcnt=-10prefetch wait for local write

// Skip force waitcnt0
s_barrier //


/* local read prefetch a */

_ds_load_b64 v[vgprValuA_X0_I0+0:vgprValuA_X0_I0+0+1], v[vgprLocalReadAddrA] offset:0 // L -> Reg lro=0 swapByteOffset=0 ti=16 vIdx=0 rIdx=0 oIdx=0 buffer=0 iui=0
_ds_load_b64 v[vgprValuA_X0_I0+2:vgprValuA_X0_I0+2+1], v[vgprLocalReadAddrA] offset:2176 // L -> Reg lro=0 swapByteOffset=0 ti=16 vIdx=1 rIdx=0 oIdx=0 buffer=0 iui=0
_ds_load_b64 v[vgprValuA_X0_I0+4:vgprValuA_X0_I0+4+1], v[vgprLocalReadAddrA] offset:4352 // L -> Reg lro=0 swapByteOffset=0 ti=16 vIdx=2 rIdx=0 oIdx=0 buffer=0 iui=0
_ds_load_b64 v[vgprValuA_X0_I0+6:vgprValuA_X0_I0+6+1], v[vgprLocalReadAddrA] offset:6528 // L -> Reg lro=0 swapByteOffset=0 ti=16 vIdx=3 rIdx=0 oIdx=0 buffer=0 iui=0
_ds_load_b64 v[vgprValuA_X0_I0+8:vgprValuA_X0_I0+8+1], v[vgprLocalReadAddrA] offset:8704 // L -> Reg lro=0 swapByteOffset=0 ti=16 vIdx=4 rIdx=0 oIdx=0 buffer=0 iui=0
_ds_load_b64 v[vgprValuA_X0_I0+10:vgprValuA_X0_I0+10+1], v[vgprLocalReadAddrA] offset:10880 // L -> Reg lro=0 swapByteOffset=0 ti=16 vIdx=5 rIdx=0 oIdx=0 buffer=0 iui=0
_ds_load_b64 v[vgprValuA_X0_I0+12:vgprValuA_X0_I0+12+1], v[vgprLocalReadAddrA] offset:13056 // L -> Reg lro=0 swapByteOffset=0 ti=16 vIdx=6 rIdx=0 oIdx=0 buffer=0 iui=0
_ds_load_b64 v[vgprValuA_X0_I0+14:vgprValuA_X0_I0+14+1], v[vgprLocalReadAddrA] offset:15232 // L -> Reg lro=0 swapByteOffset=0 ti=16 vIdx=7 rIdx=0 oIdx=0 buffer=0 iui=0
_ds_load_b64 v[vgprValuA_X0_I0+16:vgprValuA_X0_I0+16+1], v[vgprLocalReadAddrA] offset:17408 // L -> Reg lro=0 swapByteOffset=0 ti=16 vIdx=8 rIdx=0 oIdx=0 buffer=0 iui=0


/* local read prefetch b */

_ds_load_b64 v[vgprValuB_X0_I0+0:vgprValuB_X0_I0+0+1], v[vgprLocalReadAddrB] offset:0 // L -> Reg lro=0 swapByteOffset=0 ti=64 vIdx=0 rIdx=0 oIdx=0 buffer=0 iui=0
_ds_load_b64 v[vgprValuB_X0_I0+2:vgprValuB_X0_I0+2+1], v[vgprLocalReadAddrB] offset:9216 // L -> Reg lro=0 swapByteOffset=0 ti=64 vIdx=1 rIdx=0 oIdx=0 buffer=0 iui=0


/* local read inc a */

/* N/A, lro->4 */
/* self.localReadDoCntA 1 self.localReadDoCntB 1 */


/* local read inc b */

/* N/A, lro->4 */
/* self.localReadDoCntA 1 self.localReadDoCntB 1 */


	;; [unrolled: 1-line block ×3, first 2 shown]
/******************************************/
/* Unrolled Loop(s) - Begin               */
/******************************************/

openLoopL_13:
s_cmp_eq_u32 s[sgprLoopCounterL], 0x1              // LoopCounterL < EndCounter
s_cbranch_scc1 label_0014                          // PGR=2 but only 1 loop, toPGR1
s_cmp_le_u32 s[sgprLoopCounterL], 0x2              // LoopCounterL < EndCounter
s_cbranch_scc1 LoopEndL_evenexit_4                 // do not enter LoopL
LoopBeginL_1:


/******************************************/
/* Unrolled Loop 1/2 - Begin              */
/******************************************/

label_0015: // LoopCopy1 


/* Begin Each Unroll: Check VGPR.checkin for INT8 LW */


	;; [unrolled: 1-line block ×3, first 2 shown]
/* iter 0 */

/*  grEndMfmaIndex:6, lwStartMfmaIndex:156, lwEndMfmaIndex:277  */
/*  numMfmaForLR:8, barrierMfmaIndex:279, LocalWritePerMfma:0.100 */
/*  mfmaIndex:0  */
s_waitcnt lgkmcnt(0)                               // lgkmcnt=0 vmcnt=-1wait for prior local read local write old=0, new=0 newLW=0 newLR=0
v_add_f32 v85, -v[vgprValuA_X0_I0+0+0+0+1], 0      // Ai=-Ai
v_mfma_f32_16x16x4_f32 a[0+0:3+0], v[vgprValuB_X0_I0+0+0+0], v[vgprValuA_X0_I0+0+0+0], a[0:3]
 // Cr += Ar*Br
/*  mfmaIndex:1  */
_ds_load_b64 v[vgprValuA_X1_I0+0:vgprValuA_X1_I0+0+1], v[vgprLocalReadAddrA] offset:32 // L -> Reg lro=4 swapByteOffset=0 ti=16 vIdx=0 rIdx=0 oIdx=0 buffer=1 iui=0
_ds_load_b64 v[vgprValuB_X1_I0+0:vgprValuB_X1_I0+0+1], v[vgprLocalReadAddrB] offset:32 // L -> Reg lro=4 swapByteOffset=0 ti=64 vIdx=0 rIdx=0 oIdx=0 buffer=1 iui=0

/* global read inc A loopL */
s_cmp_eq_u32 s[sgprLoopCounterL], s[sgprStaggerUIter] // Is this the wrapIter?
s_cselect_b32 s72, s[sgprWrapUA+0], s[sgprGlobalReadIncsA+0] // incLower <- ?
s_cselect_b32 s73, s[sgprWrapUA+1], 0              // incUpper <- ?
v_mfma_f32_16x16x4_f32 a[72+0:75+0], v[vgprValuB_X0_I0+0+0+0], v[vgprValuA_X0_I0+0+0+0+1], a[72:75]
 // Ci += Ai*Br
/*  mfmaIndex:2  */
_ds_load_b64 v[vgprValuA_X1_I0+2:vgprValuA_X1_I0+2+1], v[vgprLocalReadAddrA] offset:2208 // L -> Reg lro=4 swapByteOffset=0 ti=16 vIdx=1 rIdx=0 oIdx=0 buffer=1 iui=0
_ds_load_b64 v[vgprValuA_X1_I0+4:vgprValuA_X1_I0+4+1], v[vgprLocalReadAddrA] offset:4384 // L -> Reg lro=4 swapByteOffset=0 ti=16 vIdx=2 rIdx=0 oIdx=0 buffer=1 iui=0
s_add_u32 s[sgprSrdA+0], s[sgprSrdA+0], s72        // gra SRD += inc(lower)
s_addc_u32  s[sgprSrdA+1], s[sgprSrdA+1], s73      // gra SRD += inc(upper)
s_sub_u32 s[sgprShadowLimitA+0], s[sgprShadowLimitA+0], s72 // limit -= inc)
v_mfma_f32_16x16x4_f32 a[0+0:3+0], v[vgprValuB_X0_I0+0+0+0+1], v85, a[0:3]
 // Cr += -Ai*Bi
/*  mfmaIndex:3  */
_ds_load_b64 v[vgprValuA_X1_I0+6:vgprValuA_X1_I0+6+1], v[vgprLocalReadAddrA] offset:6560 // L -> Reg lro=4 swapByteOffset=0 ti=16 vIdx=3 rIdx=0 oIdx=0 buffer=1 iui=0
_ds_load_b64 v[vgprValuA_X1_I0+8:vgprValuA_X1_I0+8+1], v[vgprLocalReadAddrA] offset:8736 // L -> Reg lro=4 swapByteOffset=0 ti=16 vIdx=4 rIdx=0 oIdx=0 buffer=1 iui=0
s_subb_u32 s[sgprShadowLimitA+1], s[sgprShadowLimitA+1], s73 // limit -= inc)
s_cmp_eq_u32 s[sgprShadowLimitA+1], 0              // are we within 2^32?
s_cselect_b32 s[sgprSrdA+2], s[sgprShadowLimitA+0], BufferLimitA // Move shadow to real if we are within 2^32
v_mfma_f32_16x16x4_f32 a[72+0:75+0], v[vgprValuB_X0_I0+0+0+0+1], v[vgprValuA_X0_I0+0+0+0], a[72:75]
 // Ci += Ar*Bi
/*  mfmaIndex:4  */
_ds_load_b64 v[vgprValuA_X1_I0+10:vgprValuA_X1_I0+10+1], v[vgprLocalReadAddrA] offset:10912 // L -> Reg lro=4 swapByteOffset=0 ti=16 vIdx=5 rIdx=0 oIdx=0 buffer=1 iui=0
_ds_load_b64 v[vgprValuA_X1_I0+12:vgprValuA_X1_I0+12+1], v[vgprLocalReadAddrA] offset:13088 // L -> Reg lro=4 swapByteOffset=0 ti=16 vIdx=6 rIdx=0 oIdx=0 buffer=1 iui=0

/* global read inc B loopL */
s_cmp_eq_u32 s[sgprLoopCounterL], s[sgprStaggerUIter] // Is this the wrapIter?
s_cselect_b32 s72, s[sgprWrapUB+0], s[sgprGlobalReadIncsB+0] // incLower <- ?
s_cselect_b32 s73, s[sgprWrapUB+1], 0              // incUpper <- ?
v_mfma_f32_16x16x4_f32 a[36+0:39+0], v[vgprValuB_X0_I0+2+0+0], v[vgprValuA_X0_I0+0+0+0], a[36:39]
 // Cr += Ar*Br
/*  mfmaIndex:5  */
_ds_load_b64 v[vgprValuA_X1_I0+14:vgprValuA_X1_I0+14+1], v[vgprLocalReadAddrA] offset:15264 // L -> Reg lro=4 swapByteOffset=0 ti=16 vIdx=7 rIdx=0 oIdx=0 buffer=1 iui=0
_ds_load_b64 v[vgprValuA_X1_I0+16:vgprValuA_X1_I0+16+1], v[vgprLocalReadAddrA] offset:17440 // L -> Reg lro=4 swapByteOffset=0 ti=16 vIdx=8 rIdx=0 oIdx=0 buffer=1 iui=0
s_add_u32 s[sgprSrdB+0], s[sgprSrdB+0], s72        // gra SRD += inc(lower)
s_addc_u32  s[sgprSrdB+1], s[sgprSrdB+1], s73      // gra SRD += inc(upper)
s_sub_u32 s[sgprShadowLimitB+0], s[sgprShadowLimitB+0], s72 // limit -= inc)
v_mfma_f32_16x16x4_f32 a[108+0:111+0], v[vgprValuB_X0_I0+2+0+0], v[vgprValuA_X0_I0+0+0+0+1], a[108:111]
 // Ci += Ai*Br
/*  mfmaIndex:6  */
_ds_load_b64 v[vgprValuB_X1_I0+2:vgprValuB_X1_I0+2+1], v[vgprLocalReadAddrB] offset:9248 // L -> Reg lro=4 swapByteOffset=0 ti=64 vIdx=1 rIdx=0 oIdx=0 buffer=1 iui=0
/* localReadsVacancy: latencyLeft 3 */
s_subb_u32 s[sgprShadowLimitB+1], s[sgprShadowLimitB+1], s73 // limit -= inc)
s_cmp_eq_u32 s[sgprShadowLimitB+1], 0              // are we within 2^32?
s_cselect_b32 s[sgprSrdB+2], s[sgprShadowLimitB+0], BufferLimitB // Move shadow to real if we are within 2^32
v_mfma_f32_16x16x4_f32 a[36+0:39+0], v[vgprValuB_X0_I0+2+0+0+1], v85, a[36:39]
 // Cr += -Ai*Bi
/*  mfmaIndex:7  */
/* localReadsVacancy: latencyLeft 5 */
v_mfma_f32_16x16x4_f32 a[108+0:111+0], v[vgprValuB_X0_I0+2+0+0+1], v[vgprValuA_X0_I0+0+0+0], a[108:111]
 // Ci += Ar*Bi
/*  mfmaIndex:8  */
/* localReadsVacancy: latencyLeft 5 */
v_add_f32 v85, -v[vgprValuA_X0_I0+2+0+0+1], 0      // Ai=-Ai
v_mfma_f32_16x16x4_f32 a[4+0:7+0], v[vgprValuB_X0_I0+0+0+0], v[vgprValuA_X0_I0+2+0+0], a[4:7]
 // Cr += Ar*Br
/*  mfmaIndex:9  */
/* localReadsVacancy: latencyLeft 5 */
v_mfma_f32_16x16x4_f32 a[76+0:79+0], v[vgprValuB_X0_I0+0+0+0], v[vgprValuA_X0_I0+2+0+0+1], a[76:79]
 // Ci += Ai*Br
/*  mfmaIndex:10  */
/* localReadsVacancy: latencyLeft 5 */
v_mfma_f32_16x16x4_f32 a[4+0:7+0], v[vgprValuB_X0_I0+0+0+0+1], v85, a[4:7]
 // Cr += -Ai*Bi
/*  mfmaIndex:11  */
/* localReadsVacancy: latencyLeft 5 */
v_mfma_f32_16x16x4_f32 a[76+0:79+0], v[vgprValuB_X0_I0+0+0+0+1], v[vgprValuA_X0_I0+2+0+0], a[76:79]
 // Ci += Ar*Bi
/*  mfmaIndex:12  */
/* localReadsVacancy: latencyLeft 5 */
v_mfma_f32_16x16x4_f32 a[40+0:43+0], v[vgprValuB_X0_I0+2+0+0], v[vgprValuA_X0_I0+2+0+0], a[40:43]
 // Cr += Ar*Br
/*  mfmaIndex:13  */
/* localReadsVacancy: latencyLeft 5 */
v_mfma_f32_16x16x4_f32 a[112+0:115+0], v[vgprValuB_X0_I0+2+0+0], v[vgprValuA_X0_I0+2+0+0+1], a[112:115]
 // Ci += Ai*Br
/*  mfmaIndex:14  */
/* localReadsVacancy: latencyLeft 5 */
v_mfma_f32_16x16x4_f32 a[40+0:43+0], v[vgprValuB_X0_I0+2+0+0+1], v85, a[40:43]
 // Cr += -Ai*Bi
/*  mfmaIndex:15  */
/* localReadsVacancy: latencyLeft 5 */
v_mfma_f32_16x16x4_f32 a[112+0:115+0], v[vgprValuB_X0_I0+2+0+0+1], v[vgprValuA_X0_I0+2+0+0], a[112:115]
 // Ci += Ar*Bi
/*  mfmaIndex:16  */
/* localReadsVacancy: latencyLeft 5 */
v_add_f32 v85, -v[vgprValuA_X0_I0+4+0+0+1], 0      // Ai=-Ai
v_mfma_f32_16x16x4_f32 a[8+0:11+0], v[vgprValuB_X0_I0+0+0+0], v[vgprValuA_X0_I0+4+0+0], a[8:11]
 // Cr += Ar*Br
/*  mfmaIndex:17  */
/* localReadsVacancy: latencyLeft 5 */
v_mfma_f32_16x16x4_f32 a[80+0:83+0], v[vgprValuB_X0_I0+0+0+0], v[vgprValuA_X0_I0+4+0+0+1], a[80:83]
 // Ci += Ai*Br
/*  mfmaIndex:18  */
/* localReadsVacancy: latencyLeft 5 */
v_mfma_f32_16x16x4_f32 a[8+0:11+0], v[vgprValuB_X0_I0+0+0+0+1], v85, a[8:11]
 // Cr += -Ai*Bi
/*  mfmaIndex:19  */
/* localReadsVacancy: latencyLeft 5 */
v_mfma_f32_16x16x4_f32 a[80+0:83+0], v[vgprValuB_X0_I0+0+0+0+1], v[vgprValuA_X0_I0+4+0+0], a[80:83]
 // Ci += Ar*Bi
/*  mfmaIndex:20  */
/* localReadsVacancy: latencyLeft 5 */
v_mfma_f32_16x16x4_f32 a[44+0:47+0], v[vgprValuB_X0_I0+2+0+0], v[vgprValuA_X0_I0+4+0+0], a[44:47]
 // Cr += Ar*Br
/*  mfmaIndex:21  */
/* localReadsVacancy: latencyLeft 5 */
v_mfma_f32_16x16x4_f32 a[116+0:119+0], v[vgprValuB_X0_I0+2+0+0], v[vgprValuA_X0_I0+4+0+0+1], a[116:119]
 // Ci += Ai*Br
/*  mfmaIndex:22  */
/* localReadsVacancy: latencyLeft 5 */
	;; [unrolled: 33-line block ×4, first 2 shown]
v_mfma_f32_16x16x4_f32 a[52+0:55+0], v[vgprValuB_X0_I0+2+0+0+1], v85, a[52:55]
 // Cr += -Ai*Bi
/*  mfmaIndex:39  */
/* localReadsVacancy: latencyLeft 5 */
v_mfma_f32_16x16x4_f32 a[124+0:127+0], v[vgprValuB_X0_I0+2+0+0+1], v[vgprValuA_X0_I0+8+0+0], a[124:127]
 // Ci += Ar*Bi
/*  mfmaIndex:40  */
/* localReadsVacancy: latencyLeft 5 */
v_add_f32 v85, -v[vgprValuA_X0_I0+10+0+0+1], 0     // Ai=-Ai
v_mfma_f32_16x16x4_f32 a[20+0:23+0], v[vgprValuB_X0_I0+0+0+0], v[vgprValuA_X0_I0+10+0+0], a[20:23]
 // Cr += Ar*Br
/*  mfmaIndex:41  */
/* localReadsVacancy: latencyLeft 5 */
v_mfma_f32_16x16x4_f32 a[92+0:95+0], v[vgprValuB_X0_I0+0+0+0], v[vgprValuA_X0_I0+10+0+0+1], a[92:95]
 // Ci += Ai*Br
/*  mfmaIndex:42  */
/* localReadsVacancy: latencyLeft 5 */
v_mfma_f32_16x16x4_f32 a[20+0:23+0], v[vgprValuB_X0_I0+0+0+0+1], v85, a[20:23]
 // Cr += -Ai*Bi
/*  mfmaIndex:43  */
/* localReadsVacancy: latencyLeft 5 */
v_mfma_f32_16x16x4_f32 a[92+0:95+0], v[vgprValuB_X0_I0+0+0+0+1], v[vgprValuA_X0_I0+10+0+0], a[92:95]
 // Ci += Ar*Bi
/*  mfmaIndex:44  */
/* localReadsVacancy: latencyLeft 5 */
v_mfma_f32_16x16x4_f32 a[56+0:59+0], v[vgprValuB_X0_I0+2+0+0], v[vgprValuA_X0_I0+10+0+0], a[56:59]
 // Cr += Ar*Br
/*  mfmaIndex:45  */
/* localReadsVacancy: latencyLeft 5 */
v_mfma_f32_16x16x4_f32 a[128+0:131+0], v[vgprValuB_X0_I0+2+0+0], v[vgprValuA_X0_I0+10+0+0+1], a[128:131]
 // Ci += Ai*Br
/*  mfmaIndex:46  */
/* localReadsVacancy: latencyLeft 5 */
v_mfma_f32_16x16x4_f32 a[56+0:59+0], v[vgprValuB_X0_I0+2+0+0+1], v85, a[56:59]
 // Cr += -Ai*Bi
/*  mfmaIndex:47  */
/* localReadsVacancy: latencyLeft 5 */
v_mfma_f32_16x16x4_f32 a[128+0:131+0], v[vgprValuB_X0_I0+2+0+0+1], v[vgprValuA_X0_I0+10+0+0], a[128:131]
 // Ci += Ar*Bi
/*  mfmaIndex:48  */
/* localReadsVacancy: latencyLeft 5 */
v_add_f32 v85, -v[vgprValuA_X0_I0+12+0+0+1], 0     // Ai=-Ai
v_mfma_f32_16x16x4_f32 a[24+0:27+0], v[vgprValuB_X0_I0+0+0+0], v[vgprValuA_X0_I0+12+0+0], a[24:27]
 // Cr += Ar*Br
/*  mfmaIndex:49  */
/* localReadsVacancy: latencyLeft 5 */
v_mfma_f32_16x16x4_f32 a[96+0:99+0], v[vgprValuB_X0_I0+0+0+0], v[vgprValuA_X0_I0+12+0+0+1], a[96:99]
 // Ci += Ai*Br
/*  mfmaIndex:50  */
/* localReadsVacancy: latencyLeft 5 */
v_mfma_f32_16x16x4_f32 a[24+0:27+0], v[vgprValuB_X0_I0+0+0+0+1], v85, a[24:27]
 // Cr += -Ai*Bi
/*  mfmaIndex:51  */
/* localReadsVacancy: latencyLeft 5 */
v_mfma_f32_16x16x4_f32 a[96+0:99+0], v[vgprValuB_X0_I0+0+0+0+1], v[vgprValuA_X0_I0+12+0+0], a[96:99]
 // Ci += Ar*Bi
/*  mfmaIndex:52  */
/* localReadsVacancy: latencyLeft 5 */
v_mfma_f32_16x16x4_f32 a[60+0:63+0], v[vgprValuB_X0_I0+2+0+0], v[vgprValuA_X0_I0+12+0+0], a[60:63]
 // Cr += Ar*Br
/*  mfmaIndex:53  */
/* localReadsVacancy: latencyLeft 5 */
v_mfma_f32_16x16x4_f32 a[132+0:135+0], v[vgprValuB_X0_I0+2+0+0], v[vgprValuA_X0_I0+12+0+0+1], a[132:135]
 // Ci += Ai*Br
/*  mfmaIndex:54  */
/* localReadsVacancy: latencyLeft 5 */
	;; [unrolled: 33-line block ×4, first 2 shown]
v_mfma_f32_16x16x4_f32 a[68+0:71+0], v[vgprValuB_X0_I0+2+0+0+1], v85, a[68:71]
 // Cr += -Ai*Bi
/*  mfmaIndex:71  */
/* localReadsVacancy: latencyLeft 5 */
v_mfma_f32_16x16x4_f32 a[140+0:143+0], v[vgprValuB_X0_I0+2+0+0+1], v[vgprValuA_X0_I0+16+0+0], a[140:143]
 // Ci += Ar*Bi
/* numPrefetchIter=0 */
/* dataAtIterA=-1 numReadsIterA=1 skipReadsIterA=1 readsPerIterA=9 */
/* dataAtIterB=-1 numReadsIterB=1 skipReadsIterB=1 readsPerIterB=2 */


/* iter 1 */

/*  grEndMfmaIndex:6, lwStartMfmaIndex:156, lwEndMfmaIndex:277  */
/*  numMfmaForLR:8, barrierMfmaIndex:279, LocalWritePerMfma:0.100 */
/*  mfmaIndex:72  */
_ds_load_b64 v[vgprValuA_X0_I0+0:vgprValuA_X0_I0+0+1], v[vgprLocalReadAddrA] offset:64 // L -> Reg lro=8 swapByteOffset=0 ti=16 vIdx=0 rIdx=0 oIdx=0 buffer=0 iui=0
_ds_load_b64 v[vgprValuB_X0_I0+0:vgprValuB_X0_I0+0+1], v[vgprLocalReadAddrB] offset:64 // L -> Reg lro=8 swapByteOffset=0 ti=64 vIdx=0 rIdx=0 oIdx=0 buffer=0 iui=0
s_waitcnt lgkmcnt(2)                               // lgkmcnt=0 vmcnt=-1wait for prior local read local write old=0, new=2 newLW=0 newLR=2
v_add_f32 v85, -v[vgprValuA_X1_I0+0+0+0+1], 0      // Ai=-Ai
v_mfma_f32_16x16x4_f32 a[0+0:3+0], v[vgprValuB_X1_I0+0+0+0], v[vgprValuA_X1_I0+0+0+0], a[0:3]
 // Cr += Ar*Br
/*  mfmaIndex:73  */
_ds_load_b64 v[vgprValuA_X0_I0+2:vgprValuA_X0_I0+2+1], v[vgprLocalReadAddrA] offset:2240 // L -> Reg lro=8 swapByteOffset=0 ti=16 vIdx=1 rIdx=0 oIdx=0 buffer=0 iui=0
_ds_load_b64 v[vgprValuA_X0_I0+4:vgprValuA_X0_I0+4+1], v[vgprLocalReadAddrA] offset:4416 // L -> Reg lro=8 swapByteOffset=0 ti=16 vIdx=2 rIdx=0 oIdx=0 buffer=0 iui=0
v_mfma_f32_16x16x4_f32 a[72+0:75+0], v[vgprValuB_X1_I0+0+0+0], v[vgprValuA_X1_I0+0+0+0+1], a[72:75]
 // Ci += Ai*Br
/*  mfmaIndex:74  */
_ds_load_b64 v[vgprValuA_X0_I0+6:vgprValuA_X0_I0+6+1], v[vgprLocalReadAddrA] offset:6592 // L -> Reg lro=8 swapByteOffset=0 ti=16 vIdx=3 rIdx=0 oIdx=0 buffer=0 iui=0
_ds_load_b64 v[vgprValuA_X0_I0+8:vgprValuA_X0_I0+8+1], v[vgprLocalReadAddrA] offset:8768 // L -> Reg lro=8 swapByteOffset=0 ti=16 vIdx=4 rIdx=0 oIdx=0 buffer=0 iui=0
v_mfma_f32_16x16x4_f32 a[0+0:3+0], v[vgprValuB_X1_I0+0+0+0+1], v85, a[0:3]
 // Cr += -Ai*Bi
/*  mfmaIndex:75  */
_ds_load_b64 v[vgprValuA_X0_I0+10:vgprValuA_X0_I0+10+1], v[vgprLocalReadAddrA] offset:10944 // L -> Reg lro=8 swapByteOffset=0 ti=16 vIdx=5 rIdx=0 oIdx=0 buffer=0 iui=0
_ds_load_b64 v[vgprValuA_X0_I0+12:vgprValuA_X0_I0+12+1], v[vgprLocalReadAddrA] offset:13120 // L -> Reg lro=8 swapByteOffset=0 ti=16 vIdx=6 rIdx=0 oIdx=0 buffer=0 iui=0
v_mfma_f32_16x16x4_f32 a[72+0:75+0], v[vgprValuB_X1_I0+0+0+0+1], v[vgprValuA_X1_I0+0+0+0], a[72:75]
 // Ci += Ar*Bi
/*  mfmaIndex:76  */
_ds_load_b64 v[vgprValuA_X0_I0+14:vgprValuA_X0_I0+14+1], v[vgprLocalReadAddrA] offset:15296 // L -> Reg lro=8 swapByteOffset=0 ti=16 vIdx=7 rIdx=0 oIdx=0 buffer=0 iui=0
_ds_load_b64 v[vgprValuA_X0_I0+16:vgprValuA_X0_I0+16+1], v[vgprLocalReadAddrA] offset:17472 // L -> Reg lro=8 swapByteOffset=0 ti=16 vIdx=8 rIdx=0 oIdx=0 buffer=0 iui=0
v_mfma_f32_16x16x4_f32 a[36+0:39+0], v[vgprValuB_X1_I0+2+0+0], v[vgprValuA_X1_I0+0+0+0], a[36:39]
 // Cr += Ar*Br
/*  mfmaIndex:77  */
_ds_load_b64 v[vgprValuB_X0_I0+2:vgprValuB_X0_I0+2+1], v[vgprLocalReadAddrB] offset:9280 // L -> Reg lro=8 swapByteOffset=0 ti=64 vIdx=1 rIdx=0 oIdx=0 buffer=0 iui=0
/* localReadsVacancy: latencyLeft 3 */
v_mfma_f32_16x16x4_f32 a[108+0:111+0], v[vgprValuB_X1_I0+2+0+0], v[vgprValuA_X1_I0+0+0+0+1], a[108:111]
 // Ci += Ai*Br
/*  mfmaIndex:78  */
/* localReadsVacancy: latencyLeft 5 */
v_mfma_f32_16x16x4_f32 a[36+0:39+0], v[vgprValuB_X1_I0+2+0+0+1], v85, a[36:39]
 // Cr += -Ai*Bi
/*  mfmaIndex:79  */
/* localReadsVacancy: latencyLeft 5 */
v_mfma_f32_16x16x4_f32 a[108+0:111+0], v[vgprValuB_X1_I0+2+0+0+1], v[vgprValuA_X1_I0+0+0+0], a[108:111]
 // Ci += Ar*Bi
/*  mfmaIndex:80  */
/* localReadsVacancy: latencyLeft 5 */
v_add_f32 v85, -v[vgprValuA_X1_I0+2+0+0+1], 0      // Ai=-Ai
v_mfma_f32_16x16x4_f32 a[4+0:7+0], v[vgprValuB_X1_I0+0+0+0], v[vgprValuA_X1_I0+2+0+0], a[4:7]
 // Cr += Ar*Br
/*  mfmaIndex:81  */
/* localReadsVacancy: latencyLeft 5 */
v_mfma_f32_16x16x4_f32 a[76+0:79+0], v[vgprValuB_X1_I0+0+0+0], v[vgprValuA_X1_I0+2+0+0+1], a[76:79]
 // Ci += Ai*Br
/*  mfmaIndex:82  */
/* localReadsVacancy: latencyLeft 5 */
v_mfma_f32_16x16x4_f32 a[4+0:7+0], v[vgprValuB_X1_I0+0+0+0+1], v85, a[4:7]
 // Cr += -Ai*Bi
/*  mfmaIndex:83  */
/* localReadsVacancy: latencyLeft 5 */
v_mfma_f32_16x16x4_f32 a[76+0:79+0], v[vgprValuB_X1_I0+0+0+0+1], v[vgprValuA_X1_I0+2+0+0], a[76:79]
 // Ci += Ar*Bi
/*  mfmaIndex:84  */
/* localReadsVacancy: latencyLeft 5 */
v_mfma_f32_16x16x4_f32 a[40+0:43+0], v[vgprValuB_X1_I0+2+0+0], v[vgprValuA_X1_I0+2+0+0], a[40:43]
 // Cr += Ar*Br
/*  mfmaIndex:85  */
/* localReadsVacancy: latencyLeft 5 */
v_mfma_f32_16x16x4_f32 a[112+0:115+0], v[vgprValuB_X1_I0+2+0+0], v[vgprValuA_X1_I0+2+0+0+1], a[112:115]
 // Ci += Ai*Br
/*  mfmaIndex:86  */
/* localReadsVacancy: latencyLeft 5 */
v_mfma_f32_16x16x4_f32 a[40+0:43+0], v[vgprValuB_X1_I0+2+0+0+1], v85, a[40:43]
 // Cr += -Ai*Bi
/*  mfmaIndex:87  */
/* localReadsVacancy: latencyLeft 5 */
v_mfma_f32_16x16x4_f32 a[112+0:115+0], v[vgprValuB_X1_I0+2+0+0+1], v[vgprValuA_X1_I0+2+0+0], a[112:115]
 // Ci += Ar*Bi
/*  mfmaIndex:88  */
/* localReadsVacancy: latencyLeft 5 */
v_add_f32 v85, -v[vgprValuA_X1_I0+4+0+0+1], 0      // Ai=-Ai
v_mfma_f32_16x16x4_f32 a[8+0:11+0], v[vgprValuB_X1_I0+0+0+0], v[vgprValuA_X1_I0+4+0+0], a[8:11]
 // Cr += Ar*Br
/*  mfmaIndex:89  */
/* localReadsVacancy: latencyLeft 5 */
v_mfma_f32_16x16x4_f32 a[80+0:83+0], v[vgprValuB_X1_I0+0+0+0], v[vgprValuA_X1_I0+4+0+0+1], a[80:83]
 // Ci += Ai*Br
/*  mfmaIndex:90  */
/* localReadsVacancy: latencyLeft 5 */
v_mfma_f32_16x16x4_f32 a[8+0:11+0], v[vgprValuB_X1_I0+0+0+0+1], v85, a[8:11]
 // Cr += -Ai*Bi
/*  mfmaIndex:91  */
/* localReadsVacancy: latencyLeft 5 */
v_mfma_f32_16x16x4_f32 a[80+0:83+0], v[vgprValuB_X1_I0+0+0+0+1], v[vgprValuA_X1_I0+4+0+0], a[80:83]
 // Ci += Ar*Bi
/*  mfmaIndex:92  */
/* localReadsVacancy: latencyLeft 5 */
v_mfma_f32_16x16x4_f32 a[44+0:47+0], v[vgprValuB_X1_I0+2+0+0], v[vgprValuA_X1_I0+4+0+0], a[44:47]
 // Cr += Ar*Br
/*  mfmaIndex:93  */
	;; [unrolled: 33-line block ×4, first 2 shown]
/* localReadsVacancy: latencyLeft 5 */
v_mfma_f32_16x16x4_f32 a[124+0:127+0], v[vgprValuB_X1_I0+2+0+0], v[vgprValuA_X1_I0+8+0+0+1], a[124:127]
 // Ci += Ai*Br
/*  mfmaIndex:110  */
/* localReadsVacancy: latencyLeft 5 */
v_mfma_f32_16x16x4_f32 a[52+0:55+0], v[vgprValuB_X1_I0+2+0+0+1], v85, a[52:55]
 // Cr += -Ai*Bi
/*  mfmaIndex:111  */
/* localReadsVacancy: latencyLeft 5 */
v_mfma_f32_16x16x4_f32 a[124+0:127+0], v[vgprValuB_X1_I0+2+0+0+1], v[vgprValuA_X1_I0+8+0+0], a[124:127]
 // Ci += Ar*Bi
/*  mfmaIndex:112  */
/* localReadsVacancy: latencyLeft 5 */
v_add_f32 v85, -v[vgprValuA_X1_I0+10+0+0+1], 0     // Ai=-Ai
v_mfma_f32_16x16x4_f32 a[20+0:23+0], v[vgprValuB_X1_I0+0+0+0], v[vgprValuA_X1_I0+10+0+0], a[20:23]
 // Cr += Ar*Br
/*  mfmaIndex:113  */
/* localReadsVacancy: latencyLeft 5 */
v_mfma_f32_16x16x4_f32 a[92+0:95+0], v[vgprValuB_X1_I0+0+0+0], v[vgprValuA_X1_I0+10+0+0+1], a[92:95]
 // Ci += Ai*Br
/*  mfmaIndex:114  */
/* localReadsVacancy: latencyLeft 5 */
v_mfma_f32_16x16x4_f32 a[20+0:23+0], v[vgprValuB_X1_I0+0+0+0+1], v85, a[20:23]
 // Cr += -Ai*Bi
/*  mfmaIndex:115  */
/* localReadsVacancy: latencyLeft 5 */
v_mfma_f32_16x16x4_f32 a[92+0:95+0], v[vgprValuB_X1_I0+0+0+0+1], v[vgprValuA_X1_I0+10+0+0], a[92:95]
 // Ci += Ar*Bi
/*  mfmaIndex:116  */
/* localReadsVacancy: latencyLeft 5 */
v_mfma_f32_16x16x4_f32 a[56+0:59+0], v[vgprValuB_X1_I0+2+0+0], v[vgprValuA_X1_I0+10+0+0], a[56:59]
 // Cr += Ar*Br
/*  mfmaIndex:117  */
/* localReadsVacancy: latencyLeft 5 */
v_mfma_f32_16x16x4_f32 a[128+0:131+0], v[vgprValuB_X1_I0+2+0+0], v[vgprValuA_X1_I0+10+0+0+1], a[128:131]
 // Ci += Ai*Br
/*  mfmaIndex:118  */
/* localReadsVacancy: latencyLeft 5 */
v_mfma_f32_16x16x4_f32 a[56+0:59+0], v[vgprValuB_X1_I0+2+0+0+1], v85, a[56:59]
 // Cr += -Ai*Bi
/*  mfmaIndex:119  */
/* localReadsVacancy: latencyLeft 5 */
v_mfma_f32_16x16x4_f32 a[128+0:131+0], v[vgprValuB_X1_I0+2+0+0+1], v[vgprValuA_X1_I0+10+0+0], a[128:131]
 // Ci += Ar*Bi
/*  mfmaIndex:120  */
/* localReadsVacancy: latencyLeft 5 */
v_add_f32 v85, -v[vgprValuA_X1_I0+12+0+0+1], 0     // Ai=-Ai
v_mfma_f32_16x16x4_f32 a[24+0:27+0], v[vgprValuB_X1_I0+0+0+0], v[vgprValuA_X1_I0+12+0+0], a[24:27]
 // Cr += Ar*Br
/*  mfmaIndex:121  */
/* localReadsVacancy: latencyLeft 5 */
v_mfma_f32_16x16x4_f32 a[96+0:99+0], v[vgprValuB_X1_I0+0+0+0], v[vgprValuA_X1_I0+12+0+0+1], a[96:99]
 // Ci += Ai*Br
/*  mfmaIndex:122  */
/* localReadsVacancy: latencyLeft 5 */
v_mfma_f32_16x16x4_f32 a[24+0:27+0], v[vgprValuB_X1_I0+0+0+0+1], v85, a[24:27]
 // Cr += -Ai*Bi
/*  mfmaIndex:123  */
/* localReadsVacancy: latencyLeft 5 */
v_mfma_f32_16x16x4_f32 a[96+0:99+0], v[vgprValuB_X1_I0+0+0+0+1], v[vgprValuA_X1_I0+12+0+0], a[96:99]
 // Ci += Ar*Bi
/*  mfmaIndex:124  */
/* localReadsVacancy: latencyLeft 5 */
v_mfma_f32_16x16x4_f32 a[60+0:63+0], v[vgprValuB_X1_I0+2+0+0], v[vgprValuA_X1_I0+12+0+0], a[60:63]
 // Cr += Ar*Br
/*  mfmaIndex:125  */
	;; [unrolled: 33-line block ×4, first 2 shown]
/* localReadsVacancy: latencyLeft 5 */
v_mfma_f32_16x16x4_f32 a[140+0:143+0], v[vgprValuB_X1_I0+2+0+0], v[vgprValuA_X1_I0+16+0+0+1], a[140:143]
 // Ci += Ai*Br
/*  mfmaIndex:142  */
/* localReadsVacancy: latencyLeft 5 */
v_mfma_f32_16x16x4_f32 a[68+0:71+0], v[vgprValuB_X1_I0+2+0+0+1], v85, a[68:71]
 // Cr += -Ai*Bi
/*  mfmaIndex:143  */
/* localReadsVacancy: latencyLeft 5 */
v_mfma_f32_16x16x4_f32 a[140+0:143+0], v[vgprValuB_X1_I0+2+0+0+1], v[vgprValuA_X1_I0+16+0+0], a[140:143]
 // Ci += Ar*Bi
/* numPrefetchIter=0 */
/* dataAtIterA=0 numReadsIterA=2 skipReadsIterA=1 readsPerIterA=9 */
/* dataAtIterB=0 numReadsIterB=2 skipReadsIterB=1 readsPerIterB=2 */


/* iter 2 (reset local read pointers iteration)  (swap local read pointers iteration)  */

/*  grEndMfmaIndex:6, lwStartMfmaIndex:156, lwEndMfmaIndex:277  */
/*  numMfmaForLR:8, barrierMfmaIndex:279, LocalWritePerMfma:0.100 */
/*  mfmaIndex:144  */
_ds_load_b64 v[vgprValuA_X1_I0+0:vgprValuA_X1_I0+0+1], v[vgprLocalReadAddrA] offset:96 // L -> Reg lro=12 swapByteOffset=0 ti=16 vIdx=0 rIdx=0 oIdx=0 buffer=1 iui=0
_ds_load_b64 v[vgprValuB_X1_I0+0:vgprValuB_X1_I0+0+1], v[vgprLocalReadAddrB] offset:96 // L -> Reg lro=12 swapByteOffset=0 ti=64 vIdx=0 rIdx=0 oIdx=0 buffer=1 iui=0
s_waitcnt lgkmcnt(2)                               // lgkmcnt=0 vmcnt=-1wait for prior local read local write old=0, new=2 newLW=0 newLR=2
v_add_f32 v85, -v[vgprValuA_X0_I0+0+0+0+1], 0      // Ai=-Ai
v_mfma_f32_16x16x4_f32 a[0+0:3+0], v[vgprValuB_X0_I0+0+0+0], v[vgprValuA_X0_I0+0+0+0], a[0:3]
 // Cr += Ar*Br
/*  mfmaIndex:145  */
_ds_load_b64 v[vgprValuA_X1_I0+2:vgprValuA_X1_I0+2+1], v[vgprLocalReadAddrA] offset:2272 // L -> Reg lro=12 swapByteOffset=0 ti=16 vIdx=1 rIdx=0 oIdx=0 buffer=1 iui=0
_ds_load_b64 v[vgprValuA_X1_I0+4:vgprValuA_X1_I0+4+1], v[vgprLocalReadAddrA] offset:4448 // L -> Reg lro=12 swapByteOffset=0 ti=16 vIdx=2 rIdx=0 oIdx=0 buffer=1 iui=0
v_mfma_f32_16x16x4_f32 a[72+0:75+0], v[vgprValuB_X0_I0+0+0+0], v[vgprValuA_X0_I0+0+0+0+1], a[72:75]
 // Ci += Ai*Br
/*  mfmaIndex:146  */
_ds_load_b64 v[vgprValuA_X1_I0+6:vgprValuA_X1_I0+6+1], v[vgprLocalReadAddrA] offset:6624 // L -> Reg lro=12 swapByteOffset=0 ti=16 vIdx=3 rIdx=0 oIdx=0 buffer=1 iui=0
_ds_load_b64 v[vgprValuA_X1_I0+8:vgprValuA_X1_I0+8+1], v[vgprLocalReadAddrA] offset:8800 // L -> Reg lro=12 swapByteOffset=0 ti=16 vIdx=4 rIdx=0 oIdx=0 buffer=1 iui=0
v_mfma_f32_16x16x4_f32 a[0+0:3+0], v[vgprValuB_X0_I0+0+0+0+1], v85, a[0:3]
 // Cr += -Ai*Bi
/*  mfmaIndex:147  */
_ds_load_b64 v[vgprValuA_X1_I0+10:vgprValuA_X1_I0+10+1], v[vgprLocalReadAddrA] offset:10976 // L -> Reg lro=12 swapByteOffset=0 ti=16 vIdx=5 rIdx=0 oIdx=0 buffer=1 iui=0
_ds_load_b64 v[vgprValuA_X1_I0+12:vgprValuA_X1_I0+12+1], v[vgprLocalReadAddrA] offset:13152 // L -> Reg lro=12 swapByteOffset=0 ti=16 vIdx=6 rIdx=0 oIdx=0 buffer=1 iui=0
v_mfma_f32_16x16x4_f32 a[72+0:75+0], v[vgprValuB_X0_I0+0+0+0+1], v[vgprValuA_X0_I0+0+0+0], a[72:75]
 // Ci += Ar*Bi
/*  mfmaIndex:148  */
_ds_load_b64 v[vgprValuA_X1_I0+14:vgprValuA_X1_I0+14+1], v[vgprLocalReadAddrA] offset:15328 // L -> Reg lro=12 swapByteOffset=0 ti=16 vIdx=7 rIdx=0 oIdx=0 buffer=1 iui=0
_ds_load_b64 v[vgprValuA_X1_I0+16:vgprValuA_X1_I0+16+1], v[vgprLocalReadAddrA] offset:17504 // L -> Reg lro=12 swapByteOffset=0 ti=16 vIdx=8 rIdx=0 oIdx=0 buffer=1 iui=0
v_mfma_f32_16x16x4_f32 a[36+0:39+0], v[vgprValuB_X0_I0+2+0+0], v[vgprValuA_X0_I0+0+0+0], a[36:39]
 // Cr += Ar*Br
/*  mfmaIndex:149  */
_ds_load_b64 v[vgprValuB_X1_I0+2:vgprValuB_X1_I0+2+1], v[vgprLocalReadAddrB] offset:9312 // L -> Reg lro=12 swapByteOffset=0 ti=64 vIdx=1 rIdx=0 oIdx=0 buffer=1 iui=0
/* localReadsVacancy: latencyLeft 3 */
v_mfma_f32_16x16x4_f32 a[108+0:111+0], v[vgprValuB_X0_I0+2+0+0], v[vgprValuA_X0_I0+0+0+0+1], a[108:111]
 // Ci += Ai*Br
/*  mfmaIndex:150  */
/* localReadsVacancy: latencyLeft 5 */
v_mfma_f32_16x16x4_f32 a[36+0:39+0], v[vgprValuB_X0_I0+2+0+0+1], v85, a[36:39]
 // Cr += -Ai*Bi
/*  mfmaIndex:151  */
/* localReadsVacancy: latencyLeft 5 */
v_mfma_f32_16x16x4_f32 a[108+0:111+0], v[vgprValuB_X0_I0+2+0+0+1], v[vgprValuA_X0_I0+0+0+0], a[108:111]
 // Ci += Ar*Bi
/*  mfmaIndex:152  */
/* localReadsVacancy: latencyLeft 5 */
v_add_f32 v85, -v[vgprValuA_X0_I0+2+0+0+1], 0      // Ai=-Ai
v_mfma_f32_16x16x4_f32 a[4+0:7+0], v[vgprValuB_X0_I0+0+0+0], v[vgprValuA_X0_I0+2+0+0], a[4:7]
 // Cr += Ar*Br
/*  mfmaIndex:153  */
/* localReadsVacancy: latencyLeft 5 */
v_mfma_f32_16x16x4_f32 a[76+0:79+0], v[vgprValuB_X0_I0+0+0+0], v[vgprValuA_X0_I0+2+0+0+1], a[76:79]
 // Ci += Ai*Br
/*  mfmaIndex:154  */
/* localReadsVacancy: latencyLeft 5 */
v_mfma_f32_16x16x4_f32 a[4+0:7+0], v[vgprValuB_X0_I0+0+0+0+1], v85, a[4:7]
 // Cr += -Ai*Bi
/*  mfmaIndex:155  */
/* localReadsVacancy: latencyLeft 5 */
/* 1 LDS buffer: read-sync-write */
s_waitcnt lgkmcnt(0)                               // 
s_barrier                                          // 
v_mfma_f32_16x16x4_f32 a[76+0:79+0], v[vgprValuB_X0_I0+0+0+0+1], v[vgprValuA_X0_I0+2+0+0], a[76:79]
 // Ci += Ar*Bi
/*  mfmaIndex:156  */
s_setprio 3                                        // store optimization
/* sched write - iter 2 writesPerItem=1 */
s_waitcnt vmcnt(0)                                 // lgkmcnt=-1 vmcnt=0wait for global read before writing to local
_ds_store_b64 v[vgprLocalWriteAddrA], v[vgprG2LA+0:vgprG2LA+0+1] offset:0 // lwoA_0_0_0_0 = (0*LSCA)*(MT0I+PAD) + (0*LSPA) = 0
v_mfma_f32_16x16x4_f32 a[40+0:43+0], v[vgprValuB_X0_I0+2+0+0], v[vgprValuA_X0_I0+2+0+0], a[40:43]
 // Cr += Ar*Br
/*  mfmaIndex:157  */
_buffer_load_b64 v[vgprG2LA+0:vgprG2LA+0+1], v[vgprGlobalReadOffsetA+0], s[sgprSrdA:sgprSrdA+3], 0, offen offset:0 // G -> Reg 0_0_0_0
v_mfma_f32_16x16x4_f32 a[112+0:115+0], v[vgprValuB_X0_I0+2+0+0], v[vgprValuA_X0_I0+2+0+0+1], a[112:115]
 // Ci += Ai*Br
/*  mfmaIndex:158  */
v_mfma_f32_16x16x4_f32 a[40+0:43+0], v[vgprValuB_X0_I0+2+0+0+1], v85, a[40:43]
 // Cr += -Ai*Bi
/*  mfmaIndex:159  */
v_mfma_f32_16x16x4_f32 a[112+0:115+0], v[vgprValuB_X0_I0+2+0+0+1], v[vgprValuA_X0_I0+2+0+0], a[112:115]
 // Ci += Ar*Bi
/*  mfmaIndex:160  */
v_add_f32 v85, -v[vgprValuA_X0_I0+4+0+0+1], 0      // Ai=-Ai
v_mfma_f32_16x16x4_f32 a[8+0:11+0], v[vgprValuB_X0_I0+0+0+0], v[vgprValuA_X0_I0+4+0+0], a[8:11]
 // Cr += Ar*Br
/*  mfmaIndex:161  */
v_mfma_f32_16x16x4_f32 a[80+0:83+0], v[vgprValuB_X0_I0+0+0+0], v[vgprValuA_X0_I0+4+0+0+1], a[80:83]
 // Ci += Ai*Br
/*  mfmaIndex:162  */
v_mfma_f32_16x16x4_f32 a[8+0:11+0], v[vgprValuB_X0_I0+0+0+0+1], v85, a[8:11]
 // Cr += -Ai*Bi
/*  mfmaIndex:163  */
v_mfma_f32_16x16x4_f32 a[80+0:83+0], v[vgprValuB_X0_I0+0+0+0+1], v[vgprValuA_X0_I0+4+0+0], a[80:83]
 // Ci += Ar*Bi
/*  mfmaIndex:164  */
v_mfma_f32_16x16x4_f32 a[44+0:47+0], v[vgprValuB_X0_I0+2+0+0], v[vgprValuA_X0_I0+4+0+0], a[44:47]
 // Cr += Ar*Br
/*  mfmaIndex:165  */
v_mfma_f32_16x16x4_f32 a[116+0:119+0], v[vgprValuB_X0_I0+2+0+0], v[vgprValuA_X0_I0+4+0+0+1], a[116:119]
 // Ci += Ai*Br
/*  mfmaIndex:166  */
/* sched write - iter 2 writesPerItem=1 */
s_waitcnt vmcnt(0)                                 // lgkmcnt=-1 vmcnt=0wait for global read before writing to local
_ds_store_b64 v[vgprLocalWriteAddrA], v[vgprG2LA+2:vgprG2LA+2+1] offset:2176 // lwoA_0_0_1_0 = (0*LSCA)*(MT0I+PAD) + (1*LSPA) = 2176
v_mfma_f32_16x16x4_f32 a[44+0:47+0], v[vgprValuB_X0_I0+2+0+0+1], v85, a[44:47]
 // Cr += -Ai*Bi
/*  mfmaIndex:167  */
_buffer_load_b64 v[vgprG2LA+2:vgprG2LA+2+1], v[vgprGlobalReadOffsetA+0], s[sgprSrdA:sgprSrdA+3], s[sgprScalarGlobalReadOffsetA+0], offen offset:0 // G -> Reg 0_0_1_0
v_mfma_f32_16x16x4_f32 a[116+0:119+0], v[vgprValuB_X0_I0+2+0+0+1], v[vgprValuA_X0_I0+4+0+0], a[116:119]
 // Ci += Ar*Bi
/*  mfmaIndex:168  */
v_add_f32 v85, -v[vgprValuA_X0_I0+6+0+0+1], 0      // Ai=-Ai
v_mfma_f32_16x16x4_f32 a[12+0:15+0], v[vgprValuB_X0_I0+0+0+0], v[vgprValuA_X0_I0+6+0+0], a[12:15]
 // Cr += Ar*Br
/*  mfmaIndex:169  */
v_mfma_f32_16x16x4_f32 a[84+0:87+0], v[vgprValuB_X0_I0+0+0+0], v[vgprValuA_X0_I0+6+0+0+1], a[84:87]
 // Ci += Ai*Br
/*  mfmaIndex:170  */
v_mfma_f32_16x16x4_f32 a[12+0:15+0], v[vgprValuB_X0_I0+0+0+0+1], v85, a[12:15]
 // Cr += -Ai*Bi
/*  mfmaIndex:171  */
v_mfma_f32_16x16x4_f32 a[84+0:87+0], v[vgprValuB_X0_I0+0+0+0+1], v[vgprValuA_X0_I0+6+0+0], a[84:87]
 // Ci += Ar*Bi
/*  mfmaIndex:172  */
v_mfma_f32_16x16x4_f32 a[48+0:51+0], v[vgprValuB_X0_I0+2+0+0], v[vgprValuA_X0_I0+6+0+0], a[48:51]
 // Cr += Ar*Br
/*  mfmaIndex:173  */
v_mfma_f32_16x16x4_f32 a[120+0:123+0], v[vgprValuB_X0_I0+2+0+0], v[vgprValuA_X0_I0+6+0+0+1], a[120:123]
 // Ci += Ai*Br
/*  mfmaIndex:174  */
v_mfma_f32_16x16x4_f32 a[48+0:51+0], v[vgprValuB_X0_I0+2+0+0+1], v85, a[48:51]
 // Cr += -Ai*Bi
/*  mfmaIndex:175  */
v_mfma_f32_16x16x4_f32 a[120+0:123+0], v[vgprValuB_X0_I0+2+0+0+1], v[vgprValuA_X0_I0+6+0+0], a[120:123]
 // Ci += Ar*Bi
/*  mfmaIndex:176  */
/* sched write - iter 2 writesPerItem=1 */
s_waitcnt vmcnt(0)                                 // lgkmcnt=-1 vmcnt=0wait for global read before writing to local
_ds_store_b64 v[vgprLocalWriteAddrA], v[vgprG2LA+4:vgprG2LA+4+1] offset:4352 // lwoA_0_0_2_0 = (0*LSCA)*(MT0I+PAD) + (2*LSPA) = 4352
v_add_f32 v85, -v[vgprValuA_X0_I0+8+0+0+1], 0      // Ai=-Ai
v_mfma_f32_16x16x4_f32 a[16+0:19+0], v[vgprValuB_X0_I0+0+0+0], v[vgprValuA_X0_I0+8+0+0], a[16:19]
 // Cr += Ar*Br
/*  mfmaIndex:177  */
_buffer_load_b64 v[vgprG2LA+4:vgprG2LA+4+1], v[vgprGlobalReadOffsetA+0], s[sgprSrdA:sgprSrdA+3], s[sgprScalarGlobalReadOffsetA+1], offen offset:0 // G -> Reg 0_0_2_0
v_mfma_f32_16x16x4_f32 a[88+0:91+0], v[vgprValuB_X0_I0+0+0+0], v[vgprValuA_X0_I0+8+0+0+1], a[88:91]
 // Ci += Ai*Br
/*  mfmaIndex:178  */
v_mfma_f32_16x16x4_f32 a[16+0:19+0], v[vgprValuB_X0_I0+0+0+0+1], v85, a[16:19]
 // Cr += -Ai*Bi
/*  mfmaIndex:179  */
v_mfma_f32_16x16x4_f32 a[88+0:91+0], v[vgprValuB_X0_I0+0+0+0+1], v[vgprValuA_X0_I0+8+0+0], a[88:91]
 // Ci += Ar*Bi
/*  mfmaIndex:180  */
v_mfma_f32_16x16x4_f32 a[52+0:55+0], v[vgprValuB_X0_I0+2+0+0], v[vgprValuA_X0_I0+8+0+0], a[52:55]
 // Cr += Ar*Br
/*  mfmaIndex:181  */
v_mfma_f32_16x16x4_f32 a[124+0:127+0], v[vgprValuB_X0_I0+2+0+0], v[vgprValuA_X0_I0+8+0+0+1], a[124:127]
 // Ci += Ai*Br
/*  mfmaIndex:182  */
v_mfma_f32_16x16x4_f32 a[52+0:55+0], v[vgprValuB_X0_I0+2+0+0+1], v85, a[52:55]
 // Cr += -Ai*Bi
/*  mfmaIndex:183  */
v_mfma_f32_16x16x4_f32 a[124+0:127+0], v[vgprValuB_X0_I0+2+0+0+1], v[vgprValuA_X0_I0+8+0+0], a[124:127]
 // Ci += Ar*Bi
/*  mfmaIndex:184  */
v_add_f32 v85, -v[vgprValuA_X0_I0+10+0+0+1], 0     // Ai=-Ai
v_mfma_f32_16x16x4_f32 a[20+0:23+0], v[vgprValuB_X0_I0+0+0+0], v[vgprValuA_X0_I0+10+0+0], a[20:23]
 // Cr += Ar*Br
/*  mfmaIndex:185  */
v_mfma_f32_16x16x4_f32 a[92+0:95+0], v[vgprValuB_X0_I0+0+0+0], v[vgprValuA_X0_I0+10+0+0+1], a[92:95]
 // Ci += Ai*Br
/*  mfmaIndex:186  */
/* sched write - iter 2 writesPerItem=1 */
s_waitcnt vmcnt(0)                                 // lgkmcnt=-1 vmcnt=0wait for global read before writing to local
_ds_store_b64 v[vgprLocalWriteAddrA], v[vgprG2LA+6:vgprG2LA+6+1] offset:6528 // lwoA_0_0_3_0 = (0*LSCA)*(MT0I+PAD) + (3*LSPA) = 6528
v_mfma_f32_16x16x4_f32 a[20+0:23+0], v[vgprValuB_X0_I0+0+0+0+1], v85, a[20:23]
 // Cr += -Ai*Bi
/*  mfmaIndex:187  */
_buffer_load_b64 v[vgprG2LA+6:vgprG2LA+6+1], v[vgprGlobalReadOffsetA+0], s[sgprSrdA:sgprSrdA+3], s[sgprScalarGlobalReadOffsetA+2], offen offset:0 // G -> Reg 0_0_3_0
v_mfma_f32_16x16x4_f32 a[92+0:95+0], v[vgprValuB_X0_I0+0+0+0+1], v[vgprValuA_X0_I0+10+0+0], a[92:95]
 // Ci += Ar*Bi
/*  mfmaIndex:188  */
v_mfma_f32_16x16x4_f32 a[56+0:59+0], v[vgprValuB_X0_I0+2+0+0], v[vgprValuA_X0_I0+10+0+0], a[56:59]
 // Cr += Ar*Br
/*  mfmaIndex:189  */
v_mfma_f32_16x16x4_f32 a[128+0:131+0], v[vgprValuB_X0_I0+2+0+0], v[vgprValuA_X0_I0+10+0+0+1], a[128:131]
 // Ci += Ai*Br
/*  mfmaIndex:190  */
v_mfma_f32_16x16x4_f32 a[56+0:59+0], v[vgprValuB_X0_I0+2+0+0+1], v85, a[56:59]
 // Cr += -Ai*Bi
/*  mfmaIndex:191  */
v_mfma_f32_16x16x4_f32 a[128+0:131+0], v[vgprValuB_X0_I0+2+0+0+1], v[vgprValuA_X0_I0+10+0+0], a[128:131]
 // Ci += Ar*Bi
/*  mfmaIndex:192  */
v_add_f32 v85, -v[vgprValuA_X0_I0+12+0+0+1], 0     // Ai=-Ai
v_mfma_f32_16x16x4_f32 a[24+0:27+0], v[vgprValuB_X0_I0+0+0+0], v[vgprValuA_X0_I0+12+0+0], a[24:27]
 // Cr += Ar*Br
/*  mfmaIndex:193  */
v_mfma_f32_16x16x4_f32 a[96+0:99+0], v[vgprValuB_X0_I0+0+0+0], v[vgprValuA_X0_I0+12+0+0+1], a[96:99]
 // Ci += Ai*Br
/*  mfmaIndex:194  */
v_mfma_f32_16x16x4_f32 a[24+0:27+0], v[vgprValuB_X0_I0+0+0+0+1], v85, a[24:27]
 // Cr += -Ai*Bi
/*  mfmaIndex:195  */
v_mfma_f32_16x16x4_f32 a[96+0:99+0], v[vgprValuB_X0_I0+0+0+0+1], v[vgprValuA_X0_I0+12+0+0], a[96:99]
 // Ci += Ar*Bi
/*  mfmaIndex:196  */
/* sched write - iter 2 writesPerItem=1 */
s_waitcnt vmcnt(0)                                 // lgkmcnt=-1 vmcnt=0wait for global read before writing to local
_ds_store_b64 v[vgprLocalWriteAddrA], v[vgprG2LA+8:vgprG2LA+8+1] offset:8704 // lwoA_0_0_4_0 = (0*LSCA)*(MT0I+PAD) + (4*LSPA) = 8704
v_mfma_f32_16x16x4_f32 a[60+0:63+0], v[vgprValuB_X0_I0+2+0+0], v[vgprValuA_X0_I0+12+0+0], a[60:63]
 // Cr += Ar*Br
/*  mfmaIndex:197  */
_buffer_load_b64 v[vgprG2LA+8:vgprG2LA+8+1], v[vgprGlobalReadOffsetA+0], s[sgprSrdA:sgprSrdA+3], s[sgprScalarGlobalReadOffsetA+3], offen offset:0 // G -> Reg 0_0_4_0
v_mfma_f32_16x16x4_f32 a[132+0:135+0], v[vgprValuB_X0_I0+2+0+0], v[vgprValuA_X0_I0+12+0+0+1], a[132:135]
 // Ci += Ai*Br
/*  mfmaIndex:198  */
v_mfma_f32_16x16x4_f32 a[60+0:63+0], v[vgprValuB_X0_I0+2+0+0+1], v85, a[60:63]
 // Cr += -Ai*Bi
/*  mfmaIndex:199  */
v_mfma_f32_16x16x4_f32 a[132+0:135+0], v[vgprValuB_X0_I0+2+0+0+1], v[vgprValuA_X0_I0+12+0+0], a[132:135]
 // Ci += Ar*Bi
/*  mfmaIndex:200  */
v_add_f32 v85, -v[vgprValuA_X0_I0+14+0+0+1], 0     // Ai=-Ai
v_mfma_f32_16x16x4_f32 a[28+0:31+0], v[vgprValuB_X0_I0+0+0+0], v[vgprValuA_X0_I0+14+0+0], a[28:31]
 // Cr += Ar*Br
/*  mfmaIndex:201  */
v_mfma_f32_16x16x4_f32 a[100+0:103+0], v[vgprValuB_X0_I0+0+0+0], v[vgprValuA_X0_I0+14+0+0+1], a[100:103]
 // Ci += Ai*Br
/*  mfmaIndex:202  */
v_mfma_f32_16x16x4_f32 a[28+0:31+0], v[vgprValuB_X0_I0+0+0+0+1], v85, a[28:31]
 // Cr += -Ai*Bi
/*  mfmaIndex:203  */
v_mfma_f32_16x16x4_f32 a[100+0:103+0], v[vgprValuB_X0_I0+0+0+0+1], v[vgprValuA_X0_I0+14+0+0], a[100:103]
 // Ci += Ar*Bi
/*  mfmaIndex:204  */
v_mfma_f32_16x16x4_f32 a[64+0:67+0], v[vgprValuB_X0_I0+2+0+0], v[vgprValuA_X0_I0+14+0+0], a[64:67]
 // Cr += Ar*Br
/*  mfmaIndex:205  */
v_mfma_f32_16x16x4_f32 a[136+0:139+0], v[vgprValuB_X0_I0+2+0+0], v[vgprValuA_X0_I0+14+0+0+1], a[136:139]
 // Ci += Ai*Br
/*  mfmaIndex:206  */
/* sched write - iter 2 writesPerItem=1 */
s_waitcnt vmcnt(0)                                 // lgkmcnt=-1 vmcnt=0wait for global read before writing to local
_ds_store_b64 v[vgprLocalWriteAddrA], v[vgprG2LA+10:vgprG2LA+10+1] offset:10880 // lwoA_0_0_5_0 = (0*LSCA)*(MT0I+PAD) + (5*LSPA) = 10880
v_mfma_f32_16x16x4_f32 a[64+0:67+0], v[vgprValuB_X0_I0+2+0+0+1], v85, a[64:67]
 // Cr += -Ai*Bi
/*  mfmaIndex:207  */
_buffer_load_b64 v[vgprG2LA+10:vgprG2LA+10+1], v[vgprGlobalReadOffsetA+0], s[sgprSrdA:sgprSrdA+3], s[sgprScalarGlobalReadOffsetA+4], offen offset:0 // G -> Reg 0_0_5_0
v_mfma_f32_16x16x4_f32 a[136+0:139+0], v[vgprValuB_X0_I0+2+0+0+1], v[vgprValuA_X0_I0+14+0+0], a[136:139]
 // Ci += Ar*Bi
/*  mfmaIndex:208  */
v_add_f32 v85, -v[vgprValuA_X0_I0+16+0+0+1], 0     // Ai=-Ai
v_mfma_f32_16x16x4_f32 a[32+0:35+0], v[vgprValuB_X0_I0+0+0+0], v[vgprValuA_X0_I0+16+0+0], a[32:35]
 // Cr += Ar*Br
/*  mfmaIndex:209  */
v_mfma_f32_16x16x4_f32 a[104+0:107+0], v[vgprValuB_X0_I0+0+0+0], v[vgprValuA_X0_I0+16+0+0+1], a[104:107]
 // Ci += Ai*Br
/*  mfmaIndex:210  */
v_mfma_f32_16x16x4_f32 a[32+0:35+0], v[vgprValuB_X0_I0+0+0+0+1], v85, a[32:35]
 // Cr += -Ai*Bi
/*  mfmaIndex:211  */
v_mfma_f32_16x16x4_f32 a[104+0:107+0], v[vgprValuB_X0_I0+0+0+0+1], v[vgprValuA_X0_I0+16+0+0], a[104:107]
 // Ci += Ar*Bi
/*  mfmaIndex:212  */
v_mfma_f32_16x16x4_f32 a[68+0:71+0], v[vgprValuB_X0_I0+2+0+0], v[vgprValuA_X0_I0+16+0+0], a[68:71]
 // Cr += Ar*Br
/*  mfmaIndex:213  */
v_mfma_f32_16x16x4_f32 a[140+0:143+0], v[vgprValuB_X0_I0+2+0+0], v[vgprValuA_X0_I0+16+0+0+1], a[140:143]
 // Ci += Ai*Br
/*  mfmaIndex:214  */
v_mfma_f32_16x16x4_f32 a[68+0:71+0], v[vgprValuB_X0_I0+2+0+0+1], v85, a[68:71]
 // Cr += -Ai*Bi
/*  mfmaIndex:215  */

/* local read swap offsets a */

/* local read swap offsets b */

/* local read init pointers a */

/* localReadInitPointers */

/* local read init pointers b */

/* localReadInitPointers */
v_mfma_f32_16x16x4_f32 a[140+0:143+0], v[vgprValuB_X0_I0+2+0+0+1], v[vgprValuA_X0_I0+16+0+0], a[140:143]
 // Ci += Ar*Bi
/* numPrefetchIter=0 */
/* dataAtIterA=1 numReadsIterA=3 skipReadsIterA=1 readsPerIterA=9 */
/* dataAtIterB=1 numReadsIterB=3 skipReadsIterB=1 readsPerIterB=2 */


/* iter 3 (swap and reset local write pointers iteration)  */

/*  grEndMfmaIndex:6, lwStartMfmaIndex:156, lwEndMfmaIndex:277  */
/*  numMfmaForLR:8, barrierMfmaIndex:279, LocalWritePerMfma:0.100 */
/*  mfmaIndex:216  */
/* sched write - iter 3 writesPerItem=1 */
s_waitcnt vmcnt(0)                                 // lgkmcnt=-1 vmcnt=0wait for global read before writing to local
_ds_store_b64 v[vgprLocalWriteAddrA], v[vgprG2LA+12:vgprG2LA+12+1] offset:13056 // lwoA_0_0_6_0 = (0*LSCA)*(MT0I+PAD) + (6*LSPA) = 13056
s_waitcnt lgkmcnt(7)                               // lgkmcnt=0 vmcnt=-1wait for prior local read local write old=0, new=7 newLW=7 newLR=0
v_add_f32 v85, -v[vgprValuA_X1_I0+0+0+0+1], 0      // Ai=-Ai
v_mfma_f32_16x16x4_f32 a[0+0:3+0], v[vgprValuB_X1_I0+0+0+0], v[vgprValuA_X1_I0+0+0+0], a[0:3]
 // Cr += Ar*Br
/*  mfmaIndex:217  */
_buffer_load_b64 v[vgprG2LA+12:vgprG2LA+12+1], v[vgprGlobalReadOffsetA+0], s[sgprSrdA:sgprSrdA+3], s[sgprScalarGlobalReadOffsetA+5], offen offset:0 // G -> Reg 0_0_6_0
v_mfma_f32_16x16x4_f32 a[72+0:75+0], v[vgprValuB_X1_I0+0+0+0], v[vgprValuA_X1_I0+0+0+0+1], a[72:75]
 // Ci += Ai*Br
/*  mfmaIndex:218  */
v_mfma_f32_16x16x4_f32 a[0+0:3+0], v[vgprValuB_X1_I0+0+0+0+1], v85, a[0:3]
 // Cr += -Ai*Bi
/*  mfmaIndex:219  */
v_mfma_f32_16x16x4_f32 a[72+0:75+0], v[vgprValuB_X1_I0+0+0+0+1], v[vgprValuA_X1_I0+0+0+0], a[72:75]
 // Ci += Ar*Bi
/*  mfmaIndex:220  */
v_mfma_f32_16x16x4_f32 a[36+0:39+0], v[vgprValuB_X1_I0+2+0+0], v[vgprValuA_X1_I0+0+0+0], a[36:39]
 // Cr += Ar*Br
/*  mfmaIndex:221  */
v_mfma_f32_16x16x4_f32 a[108+0:111+0], v[vgprValuB_X1_I0+2+0+0], v[vgprValuA_X1_I0+0+0+0+1], a[108:111]
 // Ci += Ai*Br
/*  mfmaIndex:222  */
v_mfma_f32_16x16x4_f32 a[36+0:39+0], v[vgprValuB_X1_I0+2+0+0+1], v85, a[36:39]
 // Cr += -Ai*Bi
/*  mfmaIndex:223  */
v_mfma_f32_16x16x4_f32 a[108+0:111+0], v[vgprValuB_X1_I0+2+0+0+1], v[vgprValuA_X1_I0+0+0+0], a[108:111]
 // Ci += Ar*Bi
/*  mfmaIndex:224  */
v_add_f32 v85, -v[vgprValuA_X1_I0+2+0+0+1], 0      // Ai=-Ai
v_mfma_f32_16x16x4_f32 a[4+0:7+0], v[vgprValuB_X1_I0+0+0+0], v[vgprValuA_X1_I0+2+0+0], a[4:7]
 // Cr += Ar*Br
/*  mfmaIndex:225  */
v_mfma_f32_16x16x4_f32 a[76+0:79+0], v[vgprValuB_X1_I0+0+0+0], v[vgprValuA_X1_I0+2+0+0+1], a[76:79]
 // Ci += Ai*Br
/*  mfmaIndex:226  */
/* sched write - iter 3 writesPerItem=1 */
s_waitcnt vmcnt(0)                                 // lgkmcnt=-1 vmcnt=0wait for global read before writing to local
_ds_store_b64 v[vgprLocalWriteAddrA], v[vgprG2LA+14:vgprG2LA+14+1] offset:15232 // lwoA_0_0_7_0 = (0*LSCA)*(MT0I+PAD) + (7*LSPA) = 15232
v_mfma_f32_16x16x4_f32 a[4+0:7+0], v[vgprValuB_X1_I0+0+0+0+1], v85, a[4:7]
 // Cr += -Ai*Bi
/*  mfmaIndex:227  */
_buffer_load_b64 v[vgprG2LA+14:vgprG2LA+14+1], v[vgprGlobalReadOffsetA+0], s[sgprSrdA:sgprSrdA+3], s[sgprScalarGlobalReadOffsetA+6], offen offset:0 // G -> Reg 0_0_7_0
v_mfma_f32_16x16x4_f32 a[76+0:79+0], v[vgprValuB_X1_I0+0+0+0+1], v[vgprValuA_X1_I0+2+0+0], a[76:79]
 // Ci += Ar*Bi
/*  mfmaIndex:228  */
v_mfma_f32_16x16x4_f32 a[40+0:43+0], v[vgprValuB_X1_I0+2+0+0], v[vgprValuA_X1_I0+2+0+0], a[40:43]
 // Cr += Ar*Br
/*  mfmaIndex:229  */
v_mfma_f32_16x16x4_f32 a[112+0:115+0], v[vgprValuB_X1_I0+2+0+0], v[vgprValuA_X1_I0+2+0+0+1], a[112:115]
 // Ci += Ai*Br
/*  mfmaIndex:230  */
v_mfma_f32_16x16x4_f32 a[40+0:43+0], v[vgprValuB_X1_I0+2+0+0+1], v85, a[40:43]
 // Cr += -Ai*Bi
/*  mfmaIndex:231  */
v_mfma_f32_16x16x4_f32 a[112+0:115+0], v[vgprValuB_X1_I0+2+0+0+1], v[vgprValuA_X1_I0+2+0+0], a[112:115]
 // Ci += Ar*Bi
/*  mfmaIndex:232  */
v_add_f32 v85, -v[vgprValuA_X1_I0+4+0+0+1], 0      // Ai=-Ai
v_mfma_f32_16x16x4_f32 a[8+0:11+0], v[vgprValuB_X1_I0+0+0+0], v[vgprValuA_X1_I0+4+0+0], a[8:11]
 // Cr += Ar*Br
/*  mfmaIndex:233  */
v_mfma_f32_16x16x4_f32 a[80+0:83+0], v[vgprValuB_X1_I0+0+0+0], v[vgprValuA_X1_I0+4+0+0+1], a[80:83]
 // Ci += Ai*Br
/*  mfmaIndex:234  */
v_mfma_f32_16x16x4_f32 a[8+0:11+0], v[vgprValuB_X1_I0+0+0+0+1], v85, a[8:11]
 // Cr += -Ai*Bi
/*  mfmaIndex:235  */
v_mfma_f32_16x16x4_f32 a[80+0:83+0], v[vgprValuB_X1_I0+0+0+0+1], v[vgprValuA_X1_I0+4+0+0], a[80:83]
 // Ci += Ar*Bi
/*  mfmaIndex:236  */
/* sched write - iter 3 writesPerItem=1 */
s_waitcnt vmcnt(0)                                 // lgkmcnt=-1 vmcnt=0wait for global read before writing to local
_ds_store_b64 v[vgprLocalWriteAddrA], v[vgprG2LA+16:vgprG2LA+16+1] offset:17408 // lwoA_0_0_8_0 = (0*LSCA)*(MT0I+PAD) + (8*LSPA) = 17408
v_mfma_f32_16x16x4_f32 a[44+0:47+0], v[vgprValuB_X1_I0+2+0+0], v[vgprValuA_X1_I0+4+0+0], a[44:47]
 // Cr += Ar*Br
/*  mfmaIndex:237  */
_buffer_load_b64 v[vgprG2LA+16:vgprG2LA+16+1], v[vgprGlobalReadOffsetA+0], s[sgprSrdA:sgprSrdA+3], s[sgprScalarGlobalReadOffsetA+7], offen offset:0 // G -> Reg 0_0_8_0
v_mfma_f32_16x16x4_f32 a[116+0:119+0], v[vgprValuB_X1_I0+2+0+0], v[vgprValuA_X1_I0+4+0+0+1], a[116:119]
 // Ci += Ai*Br
/*  mfmaIndex:238  */
v_mfma_f32_16x16x4_f32 a[44+0:47+0], v[vgprValuB_X1_I0+2+0+0+1], v85, a[44:47]
 // Cr += -Ai*Bi
/*  mfmaIndex:239  */
v_mfma_f32_16x16x4_f32 a[116+0:119+0], v[vgprValuB_X1_I0+2+0+0+1], v[vgprValuA_X1_I0+4+0+0], a[116:119]
 // Ci += Ar*Bi
/*  mfmaIndex:240  */
v_add_f32 v85, -v[vgprValuA_X1_I0+6+0+0+1], 0      // Ai=-Ai
v_mfma_f32_16x16x4_f32 a[12+0:15+0], v[vgprValuB_X1_I0+0+0+0], v[vgprValuA_X1_I0+6+0+0], a[12:15]
 // Cr += Ar*Br
/*  mfmaIndex:241  */
v_mfma_f32_16x16x4_f32 a[84+0:87+0], v[vgprValuB_X1_I0+0+0+0], v[vgprValuA_X1_I0+6+0+0+1], a[84:87]
 // Ci += Ai*Br
/*  mfmaIndex:242  */
v_mfma_f32_16x16x4_f32 a[12+0:15+0], v[vgprValuB_X1_I0+0+0+0+1], v85, a[12:15]
 // Cr += -Ai*Bi
/*  mfmaIndex:243  */
v_mfma_f32_16x16x4_f32 a[84+0:87+0], v[vgprValuB_X1_I0+0+0+0+1], v[vgprValuA_X1_I0+6+0+0], a[84:87]
 // Ci += Ar*Bi
/*  mfmaIndex:244  */
v_mfma_f32_16x16x4_f32 a[48+0:51+0], v[vgprValuB_X1_I0+2+0+0], v[vgprValuA_X1_I0+6+0+0], a[48:51]
 // Cr += Ar*Br
/*  mfmaIndex:245  */
v_mfma_f32_16x16x4_f32 a[120+0:123+0], v[vgprValuB_X1_I0+2+0+0], v[vgprValuA_X1_I0+6+0+0+1], a[120:123]
 // Ci += Ai*Br
/*  mfmaIndex:246  */
/* sched write - iter 3 writesPerItem=1 */
s_waitcnt vmcnt(0)                                 // lgkmcnt=-1 vmcnt=0wait for global read before writing to local
_ds_store_b128 v[vgprLocalWriteAddrB], v[vgprG2LB+0:vgprG2LB+0+3] offset:0 // lwoB_0_0_0_0 = (0*LSCB)*(MT1J+PAD) + (0*LSPB) = 0
v_mfma_f32_16x16x4_f32 a[48+0:51+0], v[vgprValuB_X1_I0+2+0+0+1], v85, a[48:51]
 // Cr += -Ai*Bi
/*  mfmaIndex:247  */
_buffer_load_b128 v[vgprG2LB+0:vgprG2LB+0+3], v[vgprGlobalReadOffsetB+0], s[sgprSrdB:sgprSrdB+3], 0, offen offset:0 // G -> Reg 0_0_0_0
v_mfma_f32_16x16x4_f32 a[120+0:123+0], v[vgprValuB_X1_I0+2+0+0+1], v[vgprValuA_X1_I0+6+0+0], a[120:123]
 // Ci += Ar*Bi
/*  mfmaIndex:248  */
v_add_f32 v85, -v[vgprValuA_X1_I0+8+0+0+1], 0      // Ai=-Ai
v_mfma_f32_16x16x4_f32 a[16+0:19+0], v[vgprValuB_X1_I0+0+0+0], v[vgprValuA_X1_I0+8+0+0], a[16:19]
 // Cr += Ar*Br
/*  mfmaIndex:249  */
v_mfma_f32_16x16x4_f32 a[88+0:91+0], v[vgprValuB_X1_I0+0+0+0], v[vgprValuA_X1_I0+8+0+0+1], a[88:91]
 // Ci += Ai*Br
/*  mfmaIndex:250  */
v_mfma_f32_16x16x4_f32 a[16+0:19+0], v[vgprValuB_X1_I0+0+0+0+1], v85, a[16:19]
 // Cr += -Ai*Bi
/*  mfmaIndex:251  */
v_mfma_f32_16x16x4_f32 a[88+0:91+0], v[vgprValuB_X1_I0+0+0+0+1], v[vgprValuA_X1_I0+8+0+0], a[88:91]
 // Ci += Ar*Bi
/*  mfmaIndex:252  */
v_mfma_f32_16x16x4_f32 a[52+0:55+0], v[vgprValuB_X1_I0+2+0+0], v[vgprValuA_X1_I0+8+0+0], a[52:55]
 // Cr += Ar*Br
/*  mfmaIndex:253  */
v_mfma_f32_16x16x4_f32 a[124+0:127+0], v[vgprValuB_X1_I0+2+0+0], v[vgprValuA_X1_I0+8+0+0+1], a[124:127]
 // Ci += Ai*Br
/*  mfmaIndex:254  */
v_mfma_f32_16x16x4_f32 a[52+0:55+0], v[vgprValuB_X1_I0+2+0+0+1], v85, a[52:55]
 // Cr += -Ai*Bi
/*  mfmaIndex:255  */
v_mfma_f32_16x16x4_f32 a[124+0:127+0], v[vgprValuB_X1_I0+2+0+0+1], v[vgprValuA_X1_I0+8+0+0], a[124:127]
 // Ci += Ar*Bi
/*  mfmaIndex:256  */
/* sched write - iter 3 writesPerItem=1 */
s_waitcnt vmcnt(0)                                 // lgkmcnt=-1 vmcnt=0wait for global read before writing to local
_ds_store_b128 v[vgprLocalWriteAddrB], v[vgprG2LB+4:vgprG2LB+4+3] offset:4608 // lwoB_0_0_1_0 = (0*LSCB)*(MT1J+PAD) + (1*LSPB) = 4608
v_add_f32 v85, -v[vgprValuA_X1_I0+10+0+0+1], 0     // Ai=-Ai
v_mfma_f32_16x16x4_f32 a[20+0:23+0], v[vgprValuB_X1_I0+0+0+0], v[vgprValuA_X1_I0+10+0+0], a[20:23]
 // Cr += Ar*Br
/*  mfmaIndex:257  */
_buffer_load_b128 v[vgprG2LB+4:vgprG2LB+4+3], v[vgprGlobalReadOffsetB+0], s[sgprSrdB:sgprSrdB+3], s[sgprScalarGlobalReadOffsetB+0], offen offset:0 // G -> Reg 0_0_1_0
v_mfma_f32_16x16x4_f32 a[92+0:95+0], v[vgprValuB_X1_I0+0+0+0], v[vgprValuA_X1_I0+10+0+0+1], a[92:95]
 // Ci += Ai*Br
/*  mfmaIndex:258  */
v_mfma_f32_16x16x4_f32 a[20+0:23+0], v[vgprValuB_X1_I0+0+0+0+1], v85, a[20:23]
 // Cr += -Ai*Bi
/*  mfmaIndex:259  */
v_mfma_f32_16x16x4_f32 a[92+0:95+0], v[vgprValuB_X1_I0+0+0+0+1], v[vgprValuA_X1_I0+10+0+0], a[92:95]
 // Ci += Ar*Bi
/*  mfmaIndex:260  */
v_mfma_f32_16x16x4_f32 a[56+0:59+0], v[vgprValuB_X1_I0+2+0+0], v[vgprValuA_X1_I0+10+0+0], a[56:59]
 // Cr += Ar*Br
/*  mfmaIndex:261  */
v_mfma_f32_16x16x4_f32 a[128+0:131+0], v[vgprValuB_X1_I0+2+0+0], v[vgprValuA_X1_I0+10+0+0+1], a[128:131]
 // Ci += Ai*Br
/*  mfmaIndex:262  */
v_mfma_f32_16x16x4_f32 a[56+0:59+0], v[vgprValuB_X1_I0+2+0+0+1], v85, a[56:59]
 // Cr += -Ai*Bi
/*  mfmaIndex:263  */
v_mfma_f32_16x16x4_f32 a[128+0:131+0], v[vgprValuB_X1_I0+2+0+0+1], v[vgprValuA_X1_I0+10+0+0], a[128:131]
 // Ci += Ar*Bi
/*  mfmaIndex:264  */
v_add_f32 v85, -v[vgprValuA_X1_I0+12+0+0+1], 0     // Ai=-Ai
v_mfma_f32_16x16x4_f32 a[24+0:27+0], v[vgprValuB_X1_I0+0+0+0], v[vgprValuA_X1_I0+12+0+0], a[24:27]
 // Cr += Ar*Br
/*  mfmaIndex:265  */
v_mfma_f32_16x16x4_f32 a[96+0:99+0], v[vgprValuB_X1_I0+0+0+0], v[vgprValuA_X1_I0+12+0+0+1], a[96:99]
 // Ci += Ai*Br
/*  mfmaIndex:266  */
/* sched write - iter 3 writesPerItem=1 */
s_waitcnt vmcnt(0)                                 // lgkmcnt=-1 vmcnt=0wait for global read before writing to local
_ds_store_b128 v[vgprLocalWriteAddrB], v[vgprG2LB+8:vgprG2LB+8+3] offset:9216 // lwoB_0_0_2_0 = (0*LSCB)*(MT1J+PAD) + (2*LSPB) = 9216
v_mfma_f32_16x16x4_f32 a[24+0:27+0], v[vgprValuB_X1_I0+0+0+0+1], v85, a[24:27]
 // Cr += -Ai*Bi
/*  mfmaIndex:267  */
_buffer_load_b128 v[vgprG2LB+8:vgprG2LB+8+3], v[vgprGlobalReadOffsetB+0], s[sgprSrdB:sgprSrdB+3], s[sgprScalarGlobalReadOffsetB+1], offen offset:0 // G -> Reg 0_0_2_0
v_mfma_f32_16x16x4_f32 a[96+0:99+0], v[vgprValuB_X1_I0+0+0+0+1], v[vgprValuA_X1_I0+12+0+0], a[96:99]
 // Ci += Ar*Bi
/*  mfmaIndex:268  */
v_mfma_f32_16x16x4_f32 a[60+0:63+0], v[vgprValuB_X1_I0+2+0+0], v[vgprValuA_X1_I0+12+0+0], a[60:63]
 // Cr += Ar*Br
/*  mfmaIndex:269  */
v_mfma_f32_16x16x4_f32 a[132+0:135+0], v[vgprValuB_X1_I0+2+0+0], v[vgprValuA_X1_I0+12+0+0+1], a[132:135]
 // Ci += Ai*Br
/*  mfmaIndex:270  */
v_mfma_f32_16x16x4_f32 a[60+0:63+0], v[vgprValuB_X1_I0+2+0+0+1], v85, a[60:63]
 // Cr += -Ai*Bi
/*  mfmaIndex:271  */
v_mfma_f32_16x16x4_f32 a[132+0:135+0], v[vgprValuB_X1_I0+2+0+0+1], v[vgprValuA_X1_I0+12+0+0], a[132:135]
 // Ci += Ar*Bi
/*  mfmaIndex:272  */
v_add_f32 v85, -v[vgprValuA_X1_I0+14+0+0+1], 0     // Ai=-Ai
v_mfma_f32_16x16x4_f32 a[28+0:31+0], v[vgprValuB_X1_I0+0+0+0], v[vgprValuA_X1_I0+14+0+0], a[28:31]
 // Cr += Ar*Br
/*  mfmaIndex:273  */
v_mfma_f32_16x16x4_f32 a[100+0:103+0], v[vgprValuB_X1_I0+0+0+0], v[vgprValuA_X1_I0+14+0+0+1], a[100:103]
 // Ci += Ai*Br
/*  mfmaIndex:274  */
v_mfma_f32_16x16x4_f32 a[28+0:31+0], v[vgprValuB_X1_I0+0+0+0+1], v85, a[28:31]
 // Cr += -Ai*Bi
/*  mfmaIndex:275  */
v_mfma_f32_16x16x4_f32 a[100+0:103+0], v[vgprValuB_X1_I0+0+0+0+1], v[vgprValuA_X1_I0+14+0+0], a[100:103]
 // Ci += Ar*Bi
/*  mfmaIndex:276  */
/* sched write - iter 3 writesPerItem=1 */
s_waitcnt vmcnt(0)                                 // lgkmcnt=-1 vmcnt=0wait for global read before writing to local
_ds_store_b128 v[vgprLocalWriteAddrB], v[vgprG2LB+12:vgprG2LB+12+3] offset:13824 // lwoB_0_0_3_0 = (0*LSCB)*(MT1J+PAD) + (3*LSPB) = 13824
v_mfma_f32_16x16x4_f32 a[64+0:67+0], v[vgprValuB_X1_I0+2+0+0], v[vgprValuA_X1_I0+14+0+0], a[64:67]
 // Cr += Ar*Br
/*  mfmaIndex:277  */
_buffer_load_b128 v[vgprG2LB+12:vgprG2LB+12+3], v[vgprGlobalReadOffsetB+0], s[sgprSrdB:sgprSrdB+3], s[sgprScalarGlobalReadOffsetB+2], offen offset:0 // G -> Reg 0_0_3_0

/* local write swap offsets a */

/* local write swap offsets b */
v_mfma_f32_16x16x4_f32 a[136+0:139+0], v[vgprValuB_X1_I0+2+0+0], v[vgprValuA_X1_I0+14+0+0+1], a[136:139]
 // Ci += Ai*Br
/*  mfmaIndex:278  */
v_mfma_f32_16x16x4_f32 a[64+0:67+0], v[vgprValuB_X1_I0+2+0+0+1], v85, a[64:67]
 // Cr += -Ai*Bi
s_setprio 0                                        // store optimization
/*  mfmaIndex:279  */
s_waitcnt lgkmcnt(0)                               // lgkmcnt=0 vmcnt=-13wait for local write
// Skip force waitcnt0
s_barrier //
v_mfma_f32_16x16x4_f32 a[136+0:139+0], v[vgprValuB_X1_I0+2+0+0+1], v[vgprValuA_X1_I0+14+0+0], a[136:139]
 // Ci += Ar*Bi
/*  mfmaIndex:280  */
s_setprio 3                                        // store optimization
_ds_load_b64 v[vgprValuA_X0_I0+0:vgprValuA_X0_I0+0+1], v[vgprLocalReadAddrA] offset:0 // L -> Reg lro=0 swapByteOffset=0 ti=16 vIdx=0 rIdx=0 oIdx=0 buffer=0 iui=0
_ds_load_b64 v[vgprValuB_X0_I0+0:vgprValuB_X0_I0+0+1], v[vgprLocalReadAddrB] offset:0 // L -> Reg lro=0 swapByteOffset=0 ti=64 vIdx=0 rIdx=0 oIdx=0 buffer=0 iui=0
v_add_f32 v85, -v[vgprValuA_X1_I0+16+0+0+1], 0     // Ai=-Ai
v_mfma_f32_16x16x4_f32 a[32+0:35+0], v[vgprValuB_X1_I0+0+0+0], v[vgprValuA_X1_I0+16+0+0], a[32:35]
 // Cr += Ar*Br
/*  mfmaIndex:281  */
_ds_load_b64 v[vgprValuA_X0_I0+2:vgprValuA_X0_I0+2+1], v[vgprLocalReadAddrA] offset:2176 // L -> Reg lro=0 swapByteOffset=0 ti=16 vIdx=1 rIdx=0 oIdx=0 buffer=0 iui=0
_ds_load_b64 v[vgprValuA_X0_I0+4:vgprValuA_X0_I0+4+1], v[vgprLocalReadAddrA] offset:4352 // L -> Reg lro=0 swapByteOffset=0 ti=16 vIdx=2 rIdx=0 oIdx=0 buffer=0 iui=0
v_mfma_f32_16x16x4_f32 a[104+0:107+0], v[vgprValuB_X1_I0+0+0+0], v[vgprValuA_X1_I0+16+0+0+1], a[104:107]
 // Ci += Ai*Br
/*  mfmaIndex:282  */
_ds_load_b64 v[vgprValuA_X0_I0+6:vgprValuA_X0_I0+6+1], v[vgprLocalReadAddrA] offset:6528 // L -> Reg lro=0 swapByteOffset=0 ti=16 vIdx=3 rIdx=0 oIdx=0 buffer=0 iui=0
_ds_load_b64 v[vgprValuA_X0_I0+8:vgprValuA_X0_I0+8+1], v[vgprLocalReadAddrA] offset:8704 // L -> Reg lro=0 swapByteOffset=0 ti=16 vIdx=4 rIdx=0 oIdx=0 buffer=0 iui=0
v_mfma_f32_16x16x4_f32 a[32+0:35+0], v[vgprValuB_X1_I0+0+0+0+1], v85, a[32:35]
 // Cr += -Ai*Bi
/*  mfmaIndex:283  */
_ds_load_b64 v[vgprValuA_X0_I0+10:vgprValuA_X0_I0+10+1], v[vgprLocalReadAddrA] offset:10880 // L -> Reg lro=0 swapByteOffset=0 ti=16 vIdx=5 rIdx=0 oIdx=0 buffer=0 iui=0
_ds_load_b64 v[vgprValuA_X0_I0+12:vgprValuA_X0_I0+12+1], v[vgprLocalReadAddrA] offset:13056 // L -> Reg lro=0 swapByteOffset=0 ti=16 vIdx=6 rIdx=0 oIdx=0 buffer=0 iui=0
v_mfma_f32_16x16x4_f32 a[104+0:107+0], v[vgprValuB_X1_I0+0+0+0+1], v[vgprValuA_X1_I0+16+0+0], a[104:107]
 // Ci += Ar*Bi
/*  mfmaIndex:284  */
_ds_load_b64 v[vgprValuA_X0_I0+14:vgprValuA_X0_I0+14+1], v[vgprLocalReadAddrA] offset:15232 // L -> Reg lro=0 swapByteOffset=0 ti=16 vIdx=7 rIdx=0 oIdx=0 buffer=0 iui=0
_ds_load_b64 v[vgprValuA_X0_I0+16:vgprValuA_X0_I0+16+1], v[vgprLocalReadAddrA] offset:17408 // L -> Reg lro=0 swapByteOffset=0 ti=16 vIdx=8 rIdx=0 oIdx=0 buffer=0 iui=0
v_mfma_f32_16x16x4_f32 a[68+0:71+0], v[vgprValuB_X1_I0+2+0+0], v[vgprValuA_X1_I0+16+0+0], a[68:71]
 // Cr += Ar*Br
/*  mfmaIndex:285  */
_ds_load_b64 v[vgprValuB_X0_I0+2:vgprValuB_X0_I0+2+1], v[vgprLocalReadAddrB] offset:9216 // L -> Reg lro=0 swapByteOffset=0 ti=64 vIdx=1 rIdx=0 oIdx=0 buffer=0 iui=0
v_mfma_f32_16x16x4_f32 a[140+0:143+0], v[vgprValuB_X1_I0+2+0+0], v[vgprValuA_X1_I0+16+0+0+1], a[140:143]
 // Ci += Ai*Br
/*  mfmaIndex:286  */
v_mfma_f32_16x16x4_f32 a[68+0:71+0], v[vgprValuB_X1_I0+2+0+0+1], v85, a[68:71]
 // Cr += -Ai*Bi
/*  mfmaIndex:287  */
v_mfma_f32_16x16x4_f32 a[140+0:143+0], v[vgprValuB_X1_I0+2+0+0+1], v[vgprValuA_X1_I0+16+0+0], a[140:143]
 // Ci += Ar*Bi
s_setprio 0                                        // store optimization
/* numPrefetchIter=1 */
/* dataAtIterA=2 numReadsIterA=3 skipReadsIterA=1 readsPerIterA=9 */
/* dataAtIterB=2 numReadsIterB=3 skipReadsIterB=1 readsPerIterB=2 */


/******************************************/
/* Unrolled Loop - End 1/2                */
/******************************************/


/* closeLoop loopL finalLoop=0 tailLoop=0 */
s_sub_u32 s[sgprLoopCounterL], s[sgprLoopCounterL], 1 // dec counterL
s_cmp_eq_i32 s[sgprLoopCounterL], 0x2              // counterL==2
s_cbranch_scc1 LoopEndL_oddexit_3                  // exit LoopL


/******************************************/
/* Unrolled Loop 2/2 - Begin              */
/******************************************/

label_0016: // LoopCopy2 


/* Begin Each Unroll: Check VGPR.checkin for INT8 LW */


	;; [unrolled: 1-line block ×3, first 2 shown]
/* iter 0 */

/*  grEndMfmaIndex:6, lwStartMfmaIndex:156, lwEndMfmaIndex:277  */
/*  numMfmaForLR:8, barrierMfmaIndex:279, LocalWritePerMfma:0.100 */
/*  mfmaIndex:0  */
s_waitcnt lgkmcnt(0)                               // lgkmcnt=0 vmcnt=-1wait for prior local read local write old=0, new=0 newLW=0 newLR=0
v_add_f32 v85, -v[vgprValuA_X0_I0+0+0+0+1], 0      // Ai=-Ai
v_mfma_f32_16x16x4_f32 a[0+0:3+0], v[vgprValuB_X0_I0+0+0+0], v[vgprValuA_X0_I0+0+0+0], a[0:3]
 // Cr += Ar*Br
/*  mfmaIndex:1  */
_ds_load_b64 v[vgprValuA_X1_I0+0:vgprValuA_X1_I0+0+1], v[vgprLocalReadAddrA] offset:32 // L -> Reg lro=4 swapByteOffset=0 ti=16 vIdx=0 rIdx=0 oIdx=0 buffer=1 iui=0
_ds_load_b64 v[vgprValuB_X1_I0+0:vgprValuB_X1_I0+0+1], v[vgprLocalReadAddrB] offset:32 // L -> Reg lro=4 swapByteOffset=0 ti=64 vIdx=0 rIdx=0 oIdx=0 buffer=1 iui=0

/* global read inc A loopL */
s_cmp_eq_u32 s[sgprLoopCounterL], s[sgprStaggerUIter] // Is this the wrapIter?
s_cselect_b32 s72, s[sgprWrapUA+0], s[sgprGlobalReadIncsA+0] // incLower <- ?
s_cselect_b32 s73, s[sgprWrapUA+1], 0              // incUpper <- ?
v_mfma_f32_16x16x4_f32 a[72+0:75+0], v[vgprValuB_X0_I0+0+0+0], v[vgprValuA_X0_I0+0+0+0+1], a[72:75]
 // Ci += Ai*Br
/*  mfmaIndex:2  */
_ds_load_b64 v[vgprValuA_X1_I0+2:vgprValuA_X1_I0+2+1], v[vgprLocalReadAddrA] offset:2208 // L -> Reg lro=4 swapByteOffset=0 ti=16 vIdx=1 rIdx=0 oIdx=0 buffer=1 iui=0
_ds_load_b64 v[vgprValuA_X1_I0+4:vgprValuA_X1_I0+4+1], v[vgprLocalReadAddrA] offset:4384 // L -> Reg lro=4 swapByteOffset=0 ti=16 vIdx=2 rIdx=0 oIdx=0 buffer=1 iui=0
s_add_u32 s[sgprSrdA+0], s[sgprSrdA+0], s72        // gra SRD += inc(lower)
s_addc_u32  s[sgprSrdA+1], s[sgprSrdA+1], s73      // gra SRD += inc(upper)
s_sub_u32 s[sgprShadowLimitA+0], s[sgprShadowLimitA+0], s72 // limit -= inc)
v_mfma_f32_16x16x4_f32 a[0+0:3+0], v[vgprValuB_X0_I0+0+0+0+1], v85, a[0:3]
 // Cr += -Ai*Bi
/*  mfmaIndex:3  */
_ds_load_b64 v[vgprValuA_X1_I0+6:vgprValuA_X1_I0+6+1], v[vgprLocalReadAddrA] offset:6560 // L -> Reg lro=4 swapByteOffset=0 ti=16 vIdx=3 rIdx=0 oIdx=0 buffer=1 iui=0
_ds_load_b64 v[vgprValuA_X1_I0+8:vgprValuA_X1_I0+8+1], v[vgprLocalReadAddrA] offset:8736 // L -> Reg lro=4 swapByteOffset=0 ti=16 vIdx=4 rIdx=0 oIdx=0 buffer=1 iui=0
s_subb_u32 s[sgprShadowLimitA+1], s[sgprShadowLimitA+1], s73 // limit -= inc)
s_cmp_eq_u32 s[sgprShadowLimitA+1], 0              // are we within 2^32?
s_cselect_b32 s[sgprSrdA+2], s[sgprShadowLimitA+0], BufferLimitA // Move shadow to real if we are within 2^32
v_mfma_f32_16x16x4_f32 a[72+0:75+0], v[vgprValuB_X0_I0+0+0+0+1], v[vgprValuA_X0_I0+0+0+0], a[72:75]
 // Ci += Ar*Bi
/*  mfmaIndex:4  */
_ds_load_b64 v[vgprValuA_X1_I0+10:vgprValuA_X1_I0+10+1], v[vgprLocalReadAddrA] offset:10912 // L -> Reg lro=4 swapByteOffset=0 ti=16 vIdx=5 rIdx=0 oIdx=0 buffer=1 iui=0
_ds_load_b64 v[vgprValuA_X1_I0+12:vgprValuA_X1_I0+12+1], v[vgprLocalReadAddrA] offset:13088 // L -> Reg lro=4 swapByteOffset=0 ti=16 vIdx=6 rIdx=0 oIdx=0 buffer=1 iui=0

/* global read inc B loopL */
s_cmp_eq_u32 s[sgprLoopCounterL], s[sgprStaggerUIter] // Is this the wrapIter?
s_cselect_b32 s72, s[sgprWrapUB+0], s[sgprGlobalReadIncsB+0] // incLower <- ?
s_cselect_b32 s73, s[sgprWrapUB+1], 0              // incUpper <- ?
v_mfma_f32_16x16x4_f32 a[36+0:39+0], v[vgprValuB_X0_I0+2+0+0], v[vgprValuA_X0_I0+0+0+0], a[36:39]
 // Cr += Ar*Br
/*  mfmaIndex:5  */
_ds_load_b64 v[vgprValuA_X1_I0+14:vgprValuA_X1_I0+14+1], v[vgprLocalReadAddrA] offset:15264 // L -> Reg lro=4 swapByteOffset=0 ti=16 vIdx=7 rIdx=0 oIdx=0 buffer=1 iui=0
_ds_load_b64 v[vgprValuA_X1_I0+16:vgprValuA_X1_I0+16+1], v[vgprLocalReadAddrA] offset:17440 // L -> Reg lro=4 swapByteOffset=0 ti=16 vIdx=8 rIdx=0 oIdx=0 buffer=1 iui=0
s_add_u32 s[sgprSrdB+0], s[sgprSrdB+0], s72        // gra SRD += inc(lower)
s_addc_u32  s[sgprSrdB+1], s[sgprSrdB+1], s73      // gra SRD += inc(upper)
s_sub_u32 s[sgprShadowLimitB+0], s[sgprShadowLimitB+0], s72 // limit -= inc)
v_mfma_f32_16x16x4_f32 a[108+0:111+0], v[vgprValuB_X0_I0+2+0+0], v[vgprValuA_X0_I0+0+0+0+1], a[108:111]
 // Ci += Ai*Br
/*  mfmaIndex:6  */
_ds_load_b64 v[vgprValuB_X1_I0+2:vgprValuB_X1_I0+2+1], v[vgprLocalReadAddrB] offset:9248 // L -> Reg lro=4 swapByteOffset=0 ti=64 vIdx=1 rIdx=0 oIdx=0 buffer=1 iui=0
/* localReadsVacancy: latencyLeft 3 */
s_subb_u32 s[sgprShadowLimitB+1], s[sgprShadowLimitB+1], s73 // limit -= inc)
s_cmp_eq_u32 s[sgprShadowLimitB+1], 0              // are we within 2^32?
s_cselect_b32 s[sgprSrdB+2], s[sgprShadowLimitB+0], BufferLimitB // Move shadow to real if we are within 2^32
v_mfma_f32_16x16x4_f32 a[36+0:39+0], v[vgprValuB_X0_I0+2+0+0+1], v85, a[36:39]
 // Cr += -Ai*Bi
/*  mfmaIndex:7  */
/* localReadsVacancy: latencyLeft 5 */
v_mfma_f32_16x16x4_f32 a[108+0:111+0], v[vgprValuB_X0_I0+2+0+0+1], v[vgprValuA_X0_I0+0+0+0], a[108:111]
 // Ci += Ar*Bi
/*  mfmaIndex:8  */
/* localReadsVacancy: latencyLeft 5 */
v_add_f32 v85, -v[vgprValuA_X0_I0+2+0+0+1], 0      // Ai=-Ai
v_mfma_f32_16x16x4_f32 a[4+0:7+0], v[vgprValuB_X0_I0+0+0+0], v[vgprValuA_X0_I0+2+0+0], a[4:7]
 // Cr += Ar*Br
/*  mfmaIndex:9  */
/* localReadsVacancy: latencyLeft 5 */
v_mfma_f32_16x16x4_f32 a[76+0:79+0], v[vgprValuB_X0_I0+0+0+0], v[vgprValuA_X0_I0+2+0+0+1], a[76:79]
 // Ci += Ai*Br
/*  mfmaIndex:10  */
/* localReadsVacancy: latencyLeft 5 */
v_mfma_f32_16x16x4_f32 a[4+0:7+0], v[vgprValuB_X0_I0+0+0+0+1], v85, a[4:7]
 // Cr += -Ai*Bi
/*  mfmaIndex:11  */
/* localReadsVacancy: latencyLeft 5 */
v_mfma_f32_16x16x4_f32 a[76+0:79+0], v[vgprValuB_X0_I0+0+0+0+1], v[vgprValuA_X0_I0+2+0+0], a[76:79]
 // Ci += Ar*Bi
/*  mfmaIndex:12  */
/* localReadsVacancy: latencyLeft 5 */
v_mfma_f32_16x16x4_f32 a[40+0:43+0], v[vgprValuB_X0_I0+2+0+0], v[vgprValuA_X0_I0+2+0+0], a[40:43]
 // Cr += Ar*Br
/*  mfmaIndex:13  */
/* localReadsVacancy: latencyLeft 5 */
v_mfma_f32_16x16x4_f32 a[112+0:115+0], v[vgprValuB_X0_I0+2+0+0], v[vgprValuA_X0_I0+2+0+0+1], a[112:115]
 // Ci += Ai*Br
/*  mfmaIndex:14  */
/* localReadsVacancy: latencyLeft 5 */
v_mfma_f32_16x16x4_f32 a[40+0:43+0], v[vgprValuB_X0_I0+2+0+0+1], v85, a[40:43]
 // Cr += -Ai*Bi
/*  mfmaIndex:15  */
/* localReadsVacancy: latencyLeft 5 */
v_mfma_f32_16x16x4_f32 a[112+0:115+0], v[vgprValuB_X0_I0+2+0+0+1], v[vgprValuA_X0_I0+2+0+0], a[112:115]
 // Ci += Ar*Bi
/*  mfmaIndex:16  */
/* localReadsVacancy: latencyLeft 5 */
v_add_f32 v85, -v[vgprValuA_X0_I0+4+0+0+1], 0      // Ai=-Ai
v_mfma_f32_16x16x4_f32 a[8+0:11+0], v[vgprValuB_X0_I0+0+0+0], v[vgprValuA_X0_I0+4+0+0], a[8:11]
 // Cr += Ar*Br
/*  mfmaIndex:17  */
/* localReadsVacancy: latencyLeft 5 */
v_mfma_f32_16x16x4_f32 a[80+0:83+0], v[vgprValuB_X0_I0+0+0+0], v[vgprValuA_X0_I0+4+0+0+1], a[80:83]
 // Ci += Ai*Br
/*  mfmaIndex:18  */
/* localReadsVacancy: latencyLeft 5 */
v_mfma_f32_16x16x4_f32 a[8+0:11+0], v[vgprValuB_X0_I0+0+0+0+1], v85, a[8:11]
 // Cr += -Ai*Bi
/*  mfmaIndex:19  */
/* localReadsVacancy: latencyLeft 5 */
v_mfma_f32_16x16x4_f32 a[80+0:83+0], v[vgprValuB_X0_I0+0+0+0+1], v[vgprValuA_X0_I0+4+0+0], a[80:83]
 // Ci += Ar*Bi
/*  mfmaIndex:20  */
/* localReadsVacancy: latencyLeft 5 */
v_mfma_f32_16x16x4_f32 a[44+0:47+0], v[vgprValuB_X0_I0+2+0+0], v[vgprValuA_X0_I0+4+0+0], a[44:47]
 // Cr += Ar*Br
/*  mfmaIndex:21  */
/* localReadsVacancy: latencyLeft 5 */
v_mfma_f32_16x16x4_f32 a[116+0:119+0], v[vgprValuB_X0_I0+2+0+0], v[vgprValuA_X0_I0+4+0+0+1], a[116:119]
 // Ci += Ai*Br
/*  mfmaIndex:22  */
/* localReadsVacancy: latencyLeft 5 */
	;; [unrolled: 33-line block ×4, first 2 shown]
v_mfma_f32_16x16x4_f32 a[52+0:55+0], v[vgprValuB_X0_I0+2+0+0+1], v85, a[52:55]
 // Cr += -Ai*Bi
/*  mfmaIndex:39  */
/* localReadsVacancy: latencyLeft 5 */
v_mfma_f32_16x16x4_f32 a[124+0:127+0], v[vgprValuB_X0_I0+2+0+0+1], v[vgprValuA_X0_I0+8+0+0], a[124:127]
 // Ci += Ar*Bi
/*  mfmaIndex:40  */
/* localReadsVacancy: latencyLeft 5 */
v_add_f32 v85, -v[vgprValuA_X0_I0+10+0+0+1], 0     // Ai=-Ai
v_mfma_f32_16x16x4_f32 a[20+0:23+0], v[vgprValuB_X0_I0+0+0+0], v[vgprValuA_X0_I0+10+0+0], a[20:23]
 // Cr += Ar*Br
/*  mfmaIndex:41  */
/* localReadsVacancy: latencyLeft 5 */
v_mfma_f32_16x16x4_f32 a[92+0:95+0], v[vgprValuB_X0_I0+0+0+0], v[vgprValuA_X0_I0+10+0+0+1], a[92:95]
 // Ci += Ai*Br
/*  mfmaIndex:42  */
/* localReadsVacancy: latencyLeft 5 */
v_mfma_f32_16x16x4_f32 a[20+0:23+0], v[vgprValuB_X0_I0+0+0+0+1], v85, a[20:23]
 // Cr += -Ai*Bi
/*  mfmaIndex:43  */
/* localReadsVacancy: latencyLeft 5 */
v_mfma_f32_16x16x4_f32 a[92+0:95+0], v[vgprValuB_X0_I0+0+0+0+1], v[vgprValuA_X0_I0+10+0+0], a[92:95]
 // Ci += Ar*Bi
/*  mfmaIndex:44  */
/* localReadsVacancy: latencyLeft 5 */
v_mfma_f32_16x16x4_f32 a[56+0:59+0], v[vgprValuB_X0_I0+2+0+0], v[vgprValuA_X0_I0+10+0+0], a[56:59]
 // Cr += Ar*Br
/*  mfmaIndex:45  */
/* localReadsVacancy: latencyLeft 5 */
v_mfma_f32_16x16x4_f32 a[128+0:131+0], v[vgprValuB_X0_I0+2+0+0], v[vgprValuA_X0_I0+10+0+0+1], a[128:131]
 // Ci += Ai*Br
/*  mfmaIndex:46  */
/* localReadsVacancy: latencyLeft 5 */
v_mfma_f32_16x16x4_f32 a[56+0:59+0], v[vgprValuB_X0_I0+2+0+0+1], v85, a[56:59]
 // Cr += -Ai*Bi
/*  mfmaIndex:47  */
/* localReadsVacancy: latencyLeft 5 */
v_mfma_f32_16x16x4_f32 a[128+0:131+0], v[vgprValuB_X0_I0+2+0+0+1], v[vgprValuA_X0_I0+10+0+0], a[128:131]
 // Ci += Ar*Bi
/*  mfmaIndex:48  */
/* localReadsVacancy: latencyLeft 5 */
v_add_f32 v85, -v[vgprValuA_X0_I0+12+0+0+1], 0     // Ai=-Ai
v_mfma_f32_16x16x4_f32 a[24+0:27+0], v[vgprValuB_X0_I0+0+0+0], v[vgprValuA_X0_I0+12+0+0], a[24:27]
 // Cr += Ar*Br
/*  mfmaIndex:49  */
/* localReadsVacancy: latencyLeft 5 */
v_mfma_f32_16x16x4_f32 a[96+0:99+0], v[vgprValuB_X0_I0+0+0+0], v[vgprValuA_X0_I0+12+0+0+1], a[96:99]
 // Ci += Ai*Br
/*  mfmaIndex:50  */
/* localReadsVacancy: latencyLeft 5 */
v_mfma_f32_16x16x4_f32 a[24+0:27+0], v[vgprValuB_X0_I0+0+0+0+1], v85, a[24:27]
 // Cr += -Ai*Bi
/*  mfmaIndex:51  */
/* localReadsVacancy: latencyLeft 5 */
v_mfma_f32_16x16x4_f32 a[96+0:99+0], v[vgprValuB_X0_I0+0+0+0+1], v[vgprValuA_X0_I0+12+0+0], a[96:99]
 // Ci += Ar*Bi
/*  mfmaIndex:52  */
/* localReadsVacancy: latencyLeft 5 */
v_mfma_f32_16x16x4_f32 a[60+0:63+0], v[vgprValuB_X0_I0+2+0+0], v[vgprValuA_X0_I0+12+0+0], a[60:63]
 // Cr += Ar*Br
/*  mfmaIndex:53  */
/* localReadsVacancy: latencyLeft 5 */
v_mfma_f32_16x16x4_f32 a[132+0:135+0], v[vgprValuB_X0_I0+2+0+0], v[vgprValuA_X0_I0+12+0+0+1], a[132:135]
 // Ci += Ai*Br
/*  mfmaIndex:54  */
/* localReadsVacancy: latencyLeft 5 */
	;; [unrolled: 33-line block ×4, first 2 shown]
v_mfma_f32_16x16x4_f32 a[68+0:71+0], v[vgprValuB_X0_I0+2+0+0+1], v85, a[68:71]
 // Cr += -Ai*Bi
/*  mfmaIndex:71  */
/* localReadsVacancy: latencyLeft 5 */
v_mfma_f32_16x16x4_f32 a[140+0:143+0], v[vgprValuB_X0_I0+2+0+0+1], v[vgprValuA_X0_I0+16+0+0], a[140:143]
 // Ci += Ar*Bi
/* numPrefetchIter=0 */
/* dataAtIterA=-1 numReadsIterA=1 skipReadsIterA=1 readsPerIterA=9 */
/* dataAtIterB=-1 numReadsIterB=1 skipReadsIterB=1 readsPerIterB=2 */


/* iter 1 */

/*  grEndMfmaIndex:6, lwStartMfmaIndex:156, lwEndMfmaIndex:277  */
/*  numMfmaForLR:8, barrierMfmaIndex:279, LocalWritePerMfma:0.100 */
/*  mfmaIndex:72  */
_ds_load_b64 v[vgprValuA_X0_I0+0:vgprValuA_X0_I0+0+1], v[vgprLocalReadAddrA] offset:64 // L -> Reg lro=8 swapByteOffset=0 ti=16 vIdx=0 rIdx=0 oIdx=0 buffer=0 iui=0
_ds_load_b64 v[vgprValuB_X0_I0+0:vgprValuB_X0_I0+0+1], v[vgprLocalReadAddrB] offset:64 // L -> Reg lro=8 swapByteOffset=0 ti=64 vIdx=0 rIdx=0 oIdx=0 buffer=0 iui=0
s_waitcnt lgkmcnt(2)                               // lgkmcnt=0 vmcnt=-1wait for prior local read local write old=0, new=2 newLW=0 newLR=2
v_add_f32 v85, -v[vgprValuA_X1_I0+0+0+0+1], 0      // Ai=-Ai
v_mfma_f32_16x16x4_f32 a[0+0:3+0], v[vgprValuB_X1_I0+0+0+0], v[vgprValuA_X1_I0+0+0+0], a[0:3]
 // Cr += Ar*Br
/*  mfmaIndex:73  */
_ds_load_b64 v[vgprValuA_X0_I0+2:vgprValuA_X0_I0+2+1], v[vgprLocalReadAddrA] offset:2240 // L -> Reg lro=8 swapByteOffset=0 ti=16 vIdx=1 rIdx=0 oIdx=0 buffer=0 iui=0
_ds_load_b64 v[vgprValuA_X0_I0+4:vgprValuA_X0_I0+4+1], v[vgprLocalReadAddrA] offset:4416 // L -> Reg lro=8 swapByteOffset=0 ti=16 vIdx=2 rIdx=0 oIdx=0 buffer=0 iui=0
v_mfma_f32_16x16x4_f32 a[72+0:75+0], v[vgprValuB_X1_I0+0+0+0], v[vgprValuA_X1_I0+0+0+0+1], a[72:75]
 // Ci += Ai*Br
/*  mfmaIndex:74  */
_ds_load_b64 v[vgprValuA_X0_I0+6:vgprValuA_X0_I0+6+1], v[vgprLocalReadAddrA] offset:6592 // L -> Reg lro=8 swapByteOffset=0 ti=16 vIdx=3 rIdx=0 oIdx=0 buffer=0 iui=0
_ds_load_b64 v[vgprValuA_X0_I0+8:vgprValuA_X0_I0+8+1], v[vgprLocalReadAddrA] offset:8768 // L -> Reg lro=8 swapByteOffset=0 ti=16 vIdx=4 rIdx=0 oIdx=0 buffer=0 iui=0
v_mfma_f32_16x16x4_f32 a[0+0:3+0], v[vgprValuB_X1_I0+0+0+0+1], v85, a[0:3]
 // Cr += -Ai*Bi
/*  mfmaIndex:75  */
_ds_load_b64 v[vgprValuA_X0_I0+10:vgprValuA_X0_I0+10+1], v[vgprLocalReadAddrA] offset:10944 // L -> Reg lro=8 swapByteOffset=0 ti=16 vIdx=5 rIdx=0 oIdx=0 buffer=0 iui=0
_ds_load_b64 v[vgprValuA_X0_I0+12:vgprValuA_X0_I0+12+1], v[vgprLocalReadAddrA] offset:13120 // L -> Reg lro=8 swapByteOffset=0 ti=16 vIdx=6 rIdx=0 oIdx=0 buffer=0 iui=0
v_mfma_f32_16x16x4_f32 a[72+0:75+0], v[vgprValuB_X1_I0+0+0+0+1], v[vgprValuA_X1_I0+0+0+0], a[72:75]
 // Ci += Ar*Bi
/*  mfmaIndex:76  */
_ds_load_b64 v[vgprValuA_X0_I0+14:vgprValuA_X0_I0+14+1], v[vgprLocalReadAddrA] offset:15296 // L -> Reg lro=8 swapByteOffset=0 ti=16 vIdx=7 rIdx=0 oIdx=0 buffer=0 iui=0
_ds_load_b64 v[vgprValuA_X0_I0+16:vgprValuA_X0_I0+16+1], v[vgprLocalReadAddrA] offset:17472 // L -> Reg lro=8 swapByteOffset=0 ti=16 vIdx=8 rIdx=0 oIdx=0 buffer=0 iui=0
v_mfma_f32_16x16x4_f32 a[36+0:39+0], v[vgprValuB_X1_I0+2+0+0], v[vgprValuA_X1_I0+0+0+0], a[36:39]
 // Cr += Ar*Br
/*  mfmaIndex:77  */
_ds_load_b64 v[vgprValuB_X0_I0+2:vgprValuB_X0_I0+2+1], v[vgprLocalReadAddrB] offset:9280 // L -> Reg lro=8 swapByteOffset=0 ti=64 vIdx=1 rIdx=0 oIdx=0 buffer=0 iui=0
/* localReadsVacancy: latencyLeft 3 */
v_mfma_f32_16x16x4_f32 a[108+0:111+0], v[vgprValuB_X1_I0+2+0+0], v[vgprValuA_X1_I0+0+0+0+1], a[108:111]
 // Ci += Ai*Br
/*  mfmaIndex:78  */
/* localReadsVacancy: latencyLeft 5 */
v_mfma_f32_16x16x4_f32 a[36+0:39+0], v[vgprValuB_X1_I0+2+0+0+1], v85, a[36:39]
 // Cr += -Ai*Bi
/*  mfmaIndex:79  */
/* localReadsVacancy: latencyLeft 5 */
v_mfma_f32_16x16x4_f32 a[108+0:111+0], v[vgprValuB_X1_I0+2+0+0+1], v[vgprValuA_X1_I0+0+0+0], a[108:111]
 // Ci += Ar*Bi
/*  mfmaIndex:80  */
/* localReadsVacancy: latencyLeft 5 */
v_add_f32 v85, -v[vgprValuA_X1_I0+2+0+0+1], 0      // Ai=-Ai
v_mfma_f32_16x16x4_f32 a[4+0:7+0], v[vgprValuB_X1_I0+0+0+0], v[vgprValuA_X1_I0+2+0+0], a[4:7]
 // Cr += Ar*Br
/*  mfmaIndex:81  */
/* localReadsVacancy: latencyLeft 5 */
v_mfma_f32_16x16x4_f32 a[76+0:79+0], v[vgprValuB_X1_I0+0+0+0], v[vgprValuA_X1_I0+2+0+0+1], a[76:79]
 // Ci += Ai*Br
/*  mfmaIndex:82  */
/* localReadsVacancy: latencyLeft 5 */
v_mfma_f32_16x16x4_f32 a[4+0:7+0], v[vgprValuB_X1_I0+0+0+0+1], v85, a[4:7]
 // Cr += -Ai*Bi
/*  mfmaIndex:83  */
/* localReadsVacancy: latencyLeft 5 */
v_mfma_f32_16x16x4_f32 a[76+0:79+0], v[vgprValuB_X1_I0+0+0+0+1], v[vgprValuA_X1_I0+2+0+0], a[76:79]
 // Ci += Ar*Bi
/*  mfmaIndex:84  */
/* localReadsVacancy: latencyLeft 5 */
v_mfma_f32_16x16x4_f32 a[40+0:43+0], v[vgprValuB_X1_I0+2+0+0], v[vgprValuA_X1_I0+2+0+0], a[40:43]
 // Cr += Ar*Br
/*  mfmaIndex:85  */
/* localReadsVacancy: latencyLeft 5 */
v_mfma_f32_16x16x4_f32 a[112+0:115+0], v[vgprValuB_X1_I0+2+0+0], v[vgprValuA_X1_I0+2+0+0+1], a[112:115]
 // Ci += Ai*Br
/*  mfmaIndex:86  */
/* localReadsVacancy: latencyLeft 5 */
v_mfma_f32_16x16x4_f32 a[40+0:43+0], v[vgprValuB_X1_I0+2+0+0+1], v85, a[40:43]
 // Cr += -Ai*Bi
/*  mfmaIndex:87  */
/* localReadsVacancy: latencyLeft 5 */
v_mfma_f32_16x16x4_f32 a[112+0:115+0], v[vgprValuB_X1_I0+2+0+0+1], v[vgprValuA_X1_I0+2+0+0], a[112:115]
 // Ci += Ar*Bi
/*  mfmaIndex:88  */
/* localReadsVacancy: latencyLeft 5 */
v_add_f32 v85, -v[vgprValuA_X1_I0+4+0+0+1], 0      // Ai=-Ai
v_mfma_f32_16x16x4_f32 a[8+0:11+0], v[vgprValuB_X1_I0+0+0+0], v[vgprValuA_X1_I0+4+0+0], a[8:11]
 // Cr += Ar*Br
/*  mfmaIndex:89  */
/* localReadsVacancy: latencyLeft 5 */
v_mfma_f32_16x16x4_f32 a[80+0:83+0], v[vgprValuB_X1_I0+0+0+0], v[vgprValuA_X1_I0+4+0+0+1], a[80:83]
 // Ci += Ai*Br
/*  mfmaIndex:90  */
/* localReadsVacancy: latencyLeft 5 */
v_mfma_f32_16x16x4_f32 a[8+0:11+0], v[vgprValuB_X1_I0+0+0+0+1], v85, a[8:11]
 // Cr += -Ai*Bi
/*  mfmaIndex:91  */
/* localReadsVacancy: latencyLeft 5 */
v_mfma_f32_16x16x4_f32 a[80+0:83+0], v[vgprValuB_X1_I0+0+0+0+1], v[vgprValuA_X1_I0+4+0+0], a[80:83]
 // Ci += Ar*Bi
/*  mfmaIndex:92  */
/* localReadsVacancy: latencyLeft 5 */
v_mfma_f32_16x16x4_f32 a[44+0:47+0], v[vgprValuB_X1_I0+2+0+0], v[vgprValuA_X1_I0+4+0+0], a[44:47]
 // Cr += Ar*Br
/*  mfmaIndex:93  */
	;; [unrolled: 33-line block ×4, first 2 shown]
/* localReadsVacancy: latencyLeft 5 */
v_mfma_f32_16x16x4_f32 a[124+0:127+0], v[vgprValuB_X1_I0+2+0+0], v[vgprValuA_X1_I0+8+0+0+1], a[124:127]
 // Ci += Ai*Br
/*  mfmaIndex:110  */
/* localReadsVacancy: latencyLeft 5 */
v_mfma_f32_16x16x4_f32 a[52+0:55+0], v[vgprValuB_X1_I0+2+0+0+1], v85, a[52:55]
 // Cr += -Ai*Bi
/*  mfmaIndex:111  */
/* localReadsVacancy: latencyLeft 5 */
v_mfma_f32_16x16x4_f32 a[124+0:127+0], v[vgprValuB_X1_I0+2+0+0+1], v[vgprValuA_X1_I0+8+0+0], a[124:127]
 // Ci += Ar*Bi
/*  mfmaIndex:112  */
/* localReadsVacancy: latencyLeft 5 */
v_add_f32 v85, -v[vgprValuA_X1_I0+10+0+0+1], 0     // Ai=-Ai
v_mfma_f32_16x16x4_f32 a[20+0:23+0], v[vgprValuB_X1_I0+0+0+0], v[vgprValuA_X1_I0+10+0+0], a[20:23]
 // Cr += Ar*Br
/*  mfmaIndex:113  */
/* localReadsVacancy: latencyLeft 5 */
v_mfma_f32_16x16x4_f32 a[92+0:95+0], v[vgprValuB_X1_I0+0+0+0], v[vgprValuA_X1_I0+10+0+0+1], a[92:95]
 // Ci += Ai*Br
/*  mfmaIndex:114  */
/* localReadsVacancy: latencyLeft 5 */
v_mfma_f32_16x16x4_f32 a[20+0:23+0], v[vgprValuB_X1_I0+0+0+0+1], v85, a[20:23]
 // Cr += -Ai*Bi
/*  mfmaIndex:115  */
/* localReadsVacancy: latencyLeft 5 */
v_mfma_f32_16x16x4_f32 a[92+0:95+0], v[vgprValuB_X1_I0+0+0+0+1], v[vgprValuA_X1_I0+10+0+0], a[92:95]
 // Ci += Ar*Bi
/*  mfmaIndex:116  */
/* localReadsVacancy: latencyLeft 5 */
v_mfma_f32_16x16x4_f32 a[56+0:59+0], v[vgprValuB_X1_I0+2+0+0], v[vgprValuA_X1_I0+10+0+0], a[56:59]
 // Cr += Ar*Br
/*  mfmaIndex:117  */
/* localReadsVacancy: latencyLeft 5 */
v_mfma_f32_16x16x4_f32 a[128+0:131+0], v[vgprValuB_X1_I0+2+0+0], v[vgprValuA_X1_I0+10+0+0+1], a[128:131]
 // Ci += Ai*Br
/*  mfmaIndex:118  */
/* localReadsVacancy: latencyLeft 5 */
v_mfma_f32_16x16x4_f32 a[56+0:59+0], v[vgprValuB_X1_I0+2+0+0+1], v85, a[56:59]
 // Cr += -Ai*Bi
/*  mfmaIndex:119  */
/* localReadsVacancy: latencyLeft 5 */
v_mfma_f32_16x16x4_f32 a[128+0:131+0], v[vgprValuB_X1_I0+2+0+0+1], v[vgprValuA_X1_I0+10+0+0], a[128:131]
 // Ci += Ar*Bi
/*  mfmaIndex:120  */
/* localReadsVacancy: latencyLeft 5 */
v_add_f32 v85, -v[vgprValuA_X1_I0+12+0+0+1], 0     // Ai=-Ai
v_mfma_f32_16x16x4_f32 a[24+0:27+0], v[vgprValuB_X1_I0+0+0+0], v[vgprValuA_X1_I0+12+0+0], a[24:27]
 // Cr += Ar*Br
/*  mfmaIndex:121  */
/* localReadsVacancy: latencyLeft 5 */
v_mfma_f32_16x16x4_f32 a[96+0:99+0], v[vgprValuB_X1_I0+0+0+0], v[vgprValuA_X1_I0+12+0+0+1], a[96:99]
 // Ci += Ai*Br
/*  mfmaIndex:122  */
/* localReadsVacancy: latencyLeft 5 */
v_mfma_f32_16x16x4_f32 a[24+0:27+0], v[vgprValuB_X1_I0+0+0+0+1], v85, a[24:27]
 // Cr += -Ai*Bi
/*  mfmaIndex:123  */
/* localReadsVacancy: latencyLeft 5 */
v_mfma_f32_16x16x4_f32 a[96+0:99+0], v[vgprValuB_X1_I0+0+0+0+1], v[vgprValuA_X1_I0+12+0+0], a[96:99]
 // Ci += Ar*Bi
/*  mfmaIndex:124  */
/* localReadsVacancy: latencyLeft 5 */
v_mfma_f32_16x16x4_f32 a[60+0:63+0], v[vgprValuB_X1_I0+2+0+0], v[vgprValuA_X1_I0+12+0+0], a[60:63]
 // Cr += Ar*Br
/*  mfmaIndex:125  */
	;; [unrolled: 33-line block ×4, first 2 shown]
/* localReadsVacancy: latencyLeft 5 */
v_mfma_f32_16x16x4_f32 a[140+0:143+0], v[vgprValuB_X1_I0+2+0+0], v[vgprValuA_X1_I0+16+0+0+1], a[140:143]
 // Ci += Ai*Br
/*  mfmaIndex:142  */
/* localReadsVacancy: latencyLeft 5 */
v_mfma_f32_16x16x4_f32 a[68+0:71+0], v[vgprValuB_X1_I0+2+0+0+1], v85, a[68:71]
 // Cr += -Ai*Bi
/*  mfmaIndex:143  */
/* localReadsVacancy: latencyLeft 5 */
v_mfma_f32_16x16x4_f32 a[140+0:143+0], v[vgprValuB_X1_I0+2+0+0+1], v[vgprValuA_X1_I0+16+0+0], a[140:143]
 // Ci += Ar*Bi
/* numPrefetchIter=0 */
/* dataAtIterA=0 numReadsIterA=2 skipReadsIterA=1 readsPerIterA=9 */
/* dataAtIterB=0 numReadsIterB=2 skipReadsIterB=1 readsPerIterB=2 */


/* iter 2 (reset local read pointers iteration)  (swap local read pointers iteration)  */

/*  grEndMfmaIndex:6, lwStartMfmaIndex:156, lwEndMfmaIndex:277  */
/*  numMfmaForLR:8, barrierMfmaIndex:279, LocalWritePerMfma:0.100 */
/*  mfmaIndex:144  */
_ds_load_b64 v[vgprValuA_X1_I0+0:vgprValuA_X1_I0+0+1], v[vgprLocalReadAddrA] offset:96 // L -> Reg lro=12 swapByteOffset=0 ti=16 vIdx=0 rIdx=0 oIdx=0 buffer=1 iui=0
_ds_load_b64 v[vgprValuB_X1_I0+0:vgprValuB_X1_I0+0+1], v[vgprLocalReadAddrB] offset:96 // L -> Reg lro=12 swapByteOffset=0 ti=64 vIdx=0 rIdx=0 oIdx=0 buffer=1 iui=0
s_waitcnt lgkmcnt(2)                               // lgkmcnt=0 vmcnt=-1wait for prior local read local write old=0, new=2 newLW=0 newLR=2
v_add_f32 v85, -v[vgprValuA_X0_I0+0+0+0+1], 0      // Ai=-Ai
v_mfma_f32_16x16x4_f32 a[0+0:3+0], v[vgprValuB_X0_I0+0+0+0], v[vgprValuA_X0_I0+0+0+0], a[0:3]
 // Cr += Ar*Br
/*  mfmaIndex:145  */
_ds_load_b64 v[vgprValuA_X1_I0+2:vgprValuA_X1_I0+2+1], v[vgprLocalReadAddrA] offset:2272 // L -> Reg lro=12 swapByteOffset=0 ti=16 vIdx=1 rIdx=0 oIdx=0 buffer=1 iui=0
_ds_load_b64 v[vgprValuA_X1_I0+4:vgprValuA_X1_I0+4+1], v[vgprLocalReadAddrA] offset:4448 // L -> Reg lro=12 swapByteOffset=0 ti=16 vIdx=2 rIdx=0 oIdx=0 buffer=1 iui=0
v_mfma_f32_16x16x4_f32 a[72+0:75+0], v[vgprValuB_X0_I0+0+0+0], v[vgprValuA_X0_I0+0+0+0+1], a[72:75]
 // Ci += Ai*Br
/*  mfmaIndex:146  */
_ds_load_b64 v[vgprValuA_X1_I0+6:vgprValuA_X1_I0+6+1], v[vgprLocalReadAddrA] offset:6624 // L -> Reg lro=12 swapByteOffset=0 ti=16 vIdx=3 rIdx=0 oIdx=0 buffer=1 iui=0
_ds_load_b64 v[vgprValuA_X1_I0+8:vgprValuA_X1_I0+8+1], v[vgprLocalReadAddrA] offset:8800 // L -> Reg lro=12 swapByteOffset=0 ti=16 vIdx=4 rIdx=0 oIdx=0 buffer=1 iui=0
v_mfma_f32_16x16x4_f32 a[0+0:3+0], v[vgprValuB_X0_I0+0+0+0+1], v85, a[0:3]
 // Cr += -Ai*Bi
/*  mfmaIndex:147  */
_ds_load_b64 v[vgprValuA_X1_I0+10:vgprValuA_X1_I0+10+1], v[vgprLocalReadAddrA] offset:10976 // L -> Reg lro=12 swapByteOffset=0 ti=16 vIdx=5 rIdx=0 oIdx=0 buffer=1 iui=0
_ds_load_b64 v[vgprValuA_X1_I0+12:vgprValuA_X1_I0+12+1], v[vgprLocalReadAddrA] offset:13152 // L -> Reg lro=12 swapByteOffset=0 ti=16 vIdx=6 rIdx=0 oIdx=0 buffer=1 iui=0
v_mfma_f32_16x16x4_f32 a[72+0:75+0], v[vgprValuB_X0_I0+0+0+0+1], v[vgprValuA_X0_I0+0+0+0], a[72:75]
 // Ci += Ar*Bi
/*  mfmaIndex:148  */
_ds_load_b64 v[vgprValuA_X1_I0+14:vgprValuA_X1_I0+14+1], v[vgprLocalReadAddrA] offset:15328 // L -> Reg lro=12 swapByteOffset=0 ti=16 vIdx=7 rIdx=0 oIdx=0 buffer=1 iui=0
_ds_load_b64 v[vgprValuA_X1_I0+16:vgprValuA_X1_I0+16+1], v[vgprLocalReadAddrA] offset:17504 // L -> Reg lro=12 swapByteOffset=0 ti=16 vIdx=8 rIdx=0 oIdx=0 buffer=1 iui=0
v_mfma_f32_16x16x4_f32 a[36+0:39+0], v[vgprValuB_X0_I0+2+0+0], v[vgprValuA_X0_I0+0+0+0], a[36:39]
 // Cr += Ar*Br
/*  mfmaIndex:149  */
_ds_load_b64 v[vgprValuB_X1_I0+2:vgprValuB_X1_I0+2+1], v[vgprLocalReadAddrB] offset:9312 // L -> Reg lro=12 swapByteOffset=0 ti=64 vIdx=1 rIdx=0 oIdx=0 buffer=1 iui=0
/* localReadsVacancy: latencyLeft 3 */
v_mfma_f32_16x16x4_f32 a[108+0:111+0], v[vgprValuB_X0_I0+2+0+0], v[vgprValuA_X0_I0+0+0+0+1], a[108:111]
 // Ci += Ai*Br
/*  mfmaIndex:150  */
/* localReadsVacancy: latencyLeft 5 */
v_mfma_f32_16x16x4_f32 a[36+0:39+0], v[vgprValuB_X0_I0+2+0+0+1], v85, a[36:39]
 // Cr += -Ai*Bi
/*  mfmaIndex:151  */
/* localReadsVacancy: latencyLeft 5 */
v_mfma_f32_16x16x4_f32 a[108+0:111+0], v[vgprValuB_X0_I0+2+0+0+1], v[vgprValuA_X0_I0+0+0+0], a[108:111]
 // Ci += Ar*Bi
/*  mfmaIndex:152  */
/* localReadsVacancy: latencyLeft 5 */
v_add_f32 v85, -v[vgprValuA_X0_I0+2+0+0+1], 0      // Ai=-Ai
v_mfma_f32_16x16x4_f32 a[4+0:7+0], v[vgprValuB_X0_I0+0+0+0], v[vgprValuA_X0_I0+2+0+0], a[4:7]
 // Cr += Ar*Br
/*  mfmaIndex:153  */
/* localReadsVacancy: latencyLeft 5 */
v_mfma_f32_16x16x4_f32 a[76+0:79+0], v[vgprValuB_X0_I0+0+0+0], v[vgprValuA_X0_I0+2+0+0+1], a[76:79]
 // Ci += Ai*Br
/*  mfmaIndex:154  */
/* localReadsVacancy: latencyLeft 5 */
v_mfma_f32_16x16x4_f32 a[4+0:7+0], v[vgprValuB_X0_I0+0+0+0+1], v85, a[4:7]
 // Cr += -Ai*Bi
/*  mfmaIndex:155  */
/* localReadsVacancy: latencyLeft 5 */
/* 1 LDS buffer: read-sync-write */
s_waitcnt lgkmcnt(0)                               // 
s_barrier                                          // 
v_mfma_f32_16x16x4_f32 a[76+0:79+0], v[vgprValuB_X0_I0+0+0+0+1], v[vgprValuA_X0_I0+2+0+0], a[76:79]
 // Ci += Ar*Bi
/*  mfmaIndex:156  */
s_setprio 3                                        // store optimization
/* sched write - iter 2 writesPerItem=1 */
s_waitcnt vmcnt(0)                                 // lgkmcnt=-1 vmcnt=0wait for global read before writing to local
_ds_store_b64 v[vgprLocalWriteAddrA], v[vgprG2LA+0:vgprG2LA+0+1] offset:0 // lwoA_0_0_0_0 = (0*LSCA)*(MT0I+PAD) + (0*LSPA) = 0
v_mfma_f32_16x16x4_f32 a[40+0:43+0], v[vgprValuB_X0_I0+2+0+0], v[vgprValuA_X0_I0+2+0+0], a[40:43]
 // Cr += Ar*Br
/*  mfmaIndex:157  */
_buffer_load_b64 v[vgprG2LA+0:vgprG2LA+0+1], v[vgprGlobalReadOffsetA+0], s[sgprSrdA:sgprSrdA+3], 0, offen offset:0 // G -> Reg 0_0_0_0
v_mfma_f32_16x16x4_f32 a[112+0:115+0], v[vgprValuB_X0_I0+2+0+0], v[vgprValuA_X0_I0+2+0+0+1], a[112:115]
 // Ci += Ai*Br
/*  mfmaIndex:158  */
v_mfma_f32_16x16x4_f32 a[40+0:43+0], v[vgprValuB_X0_I0+2+0+0+1], v85, a[40:43]
 // Cr += -Ai*Bi
/*  mfmaIndex:159  */
v_mfma_f32_16x16x4_f32 a[112+0:115+0], v[vgprValuB_X0_I0+2+0+0+1], v[vgprValuA_X0_I0+2+0+0], a[112:115]
 // Ci += Ar*Bi
/*  mfmaIndex:160  */
v_add_f32 v85, -v[vgprValuA_X0_I0+4+0+0+1], 0      // Ai=-Ai
v_mfma_f32_16x16x4_f32 a[8+0:11+0], v[vgprValuB_X0_I0+0+0+0], v[vgprValuA_X0_I0+4+0+0], a[8:11]
 // Cr += Ar*Br
/*  mfmaIndex:161  */
v_mfma_f32_16x16x4_f32 a[80+0:83+0], v[vgprValuB_X0_I0+0+0+0], v[vgprValuA_X0_I0+4+0+0+1], a[80:83]
 // Ci += Ai*Br
/*  mfmaIndex:162  */
v_mfma_f32_16x16x4_f32 a[8+0:11+0], v[vgprValuB_X0_I0+0+0+0+1], v85, a[8:11]
 // Cr += -Ai*Bi
/*  mfmaIndex:163  */
v_mfma_f32_16x16x4_f32 a[80+0:83+0], v[vgprValuB_X0_I0+0+0+0+1], v[vgprValuA_X0_I0+4+0+0], a[80:83]
 // Ci += Ar*Bi
/*  mfmaIndex:164  */
v_mfma_f32_16x16x4_f32 a[44+0:47+0], v[vgprValuB_X0_I0+2+0+0], v[vgprValuA_X0_I0+4+0+0], a[44:47]
 // Cr += Ar*Br
/*  mfmaIndex:165  */
v_mfma_f32_16x16x4_f32 a[116+0:119+0], v[vgprValuB_X0_I0+2+0+0], v[vgprValuA_X0_I0+4+0+0+1], a[116:119]
 // Ci += Ai*Br
/*  mfmaIndex:166  */
/* sched write - iter 2 writesPerItem=1 */
s_waitcnt vmcnt(0)                                 // lgkmcnt=-1 vmcnt=0wait for global read before writing to local
_ds_store_b64 v[vgprLocalWriteAddrA], v[vgprG2LA+2:vgprG2LA+2+1] offset:2176 // lwoA_0_0_1_0 = (0*LSCA)*(MT0I+PAD) + (1*LSPA) = 2176
v_mfma_f32_16x16x4_f32 a[44+0:47+0], v[vgprValuB_X0_I0+2+0+0+1], v85, a[44:47]
 // Cr += -Ai*Bi
/*  mfmaIndex:167  */
_buffer_load_b64 v[vgprG2LA+2:vgprG2LA+2+1], v[vgprGlobalReadOffsetA+0], s[sgprSrdA:sgprSrdA+3], s[sgprScalarGlobalReadOffsetA+0], offen offset:0 // G -> Reg 0_0_1_0
v_mfma_f32_16x16x4_f32 a[116+0:119+0], v[vgprValuB_X0_I0+2+0+0+1], v[vgprValuA_X0_I0+4+0+0], a[116:119]
 // Ci += Ar*Bi
/*  mfmaIndex:168  */
v_add_f32 v85, -v[vgprValuA_X0_I0+6+0+0+1], 0      // Ai=-Ai
v_mfma_f32_16x16x4_f32 a[12+0:15+0], v[vgprValuB_X0_I0+0+0+0], v[vgprValuA_X0_I0+6+0+0], a[12:15]
 // Cr += Ar*Br
/*  mfmaIndex:169  */
v_mfma_f32_16x16x4_f32 a[84+0:87+0], v[vgprValuB_X0_I0+0+0+0], v[vgprValuA_X0_I0+6+0+0+1], a[84:87]
 // Ci += Ai*Br
/*  mfmaIndex:170  */
v_mfma_f32_16x16x4_f32 a[12+0:15+0], v[vgprValuB_X0_I0+0+0+0+1], v85, a[12:15]
 // Cr += -Ai*Bi
/*  mfmaIndex:171  */
v_mfma_f32_16x16x4_f32 a[84+0:87+0], v[vgprValuB_X0_I0+0+0+0+1], v[vgprValuA_X0_I0+6+0+0], a[84:87]
 // Ci += Ar*Bi
/*  mfmaIndex:172  */
v_mfma_f32_16x16x4_f32 a[48+0:51+0], v[vgprValuB_X0_I0+2+0+0], v[vgprValuA_X0_I0+6+0+0], a[48:51]
 // Cr += Ar*Br
/*  mfmaIndex:173  */
v_mfma_f32_16x16x4_f32 a[120+0:123+0], v[vgprValuB_X0_I0+2+0+0], v[vgprValuA_X0_I0+6+0+0+1], a[120:123]
 // Ci += Ai*Br
/*  mfmaIndex:174  */
v_mfma_f32_16x16x4_f32 a[48+0:51+0], v[vgprValuB_X0_I0+2+0+0+1], v85, a[48:51]
 // Cr += -Ai*Bi
/*  mfmaIndex:175  */
v_mfma_f32_16x16x4_f32 a[120+0:123+0], v[vgprValuB_X0_I0+2+0+0+1], v[vgprValuA_X0_I0+6+0+0], a[120:123]
 // Ci += Ar*Bi
/*  mfmaIndex:176  */
/* sched write - iter 2 writesPerItem=1 */
s_waitcnt vmcnt(0)                                 // lgkmcnt=-1 vmcnt=0wait for global read before writing to local
_ds_store_b64 v[vgprLocalWriteAddrA], v[vgprG2LA+4:vgprG2LA+4+1] offset:4352 // lwoA_0_0_2_0 = (0*LSCA)*(MT0I+PAD) + (2*LSPA) = 4352
v_add_f32 v85, -v[vgprValuA_X0_I0+8+0+0+1], 0      // Ai=-Ai
v_mfma_f32_16x16x4_f32 a[16+0:19+0], v[vgprValuB_X0_I0+0+0+0], v[vgprValuA_X0_I0+8+0+0], a[16:19]
 // Cr += Ar*Br
/*  mfmaIndex:177  */
_buffer_load_b64 v[vgprG2LA+4:vgprG2LA+4+1], v[vgprGlobalReadOffsetA+0], s[sgprSrdA:sgprSrdA+3], s[sgprScalarGlobalReadOffsetA+1], offen offset:0 // G -> Reg 0_0_2_0
v_mfma_f32_16x16x4_f32 a[88+0:91+0], v[vgprValuB_X0_I0+0+0+0], v[vgprValuA_X0_I0+8+0+0+1], a[88:91]
 // Ci += Ai*Br
/*  mfmaIndex:178  */
v_mfma_f32_16x16x4_f32 a[16+0:19+0], v[vgprValuB_X0_I0+0+0+0+1], v85, a[16:19]
 // Cr += -Ai*Bi
/*  mfmaIndex:179  */
v_mfma_f32_16x16x4_f32 a[88+0:91+0], v[vgprValuB_X0_I0+0+0+0+1], v[vgprValuA_X0_I0+8+0+0], a[88:91]
 // Ci += Ar*Bi
/*  mfmaIndex:180  */
v_mfma_f32_16x16x4_f32 a[52+0:55+0], v[vgprValuB_X0_I0+2+0+0], v[vgprValuA_X0_I0+8+0+0], a[52:55]
 // Cr += Ar*Br
/*  mfmaIndex:181  */
v_mfma_f32_16x16x4_f32 a[124+0:127+0], v[vgprValuB_X0_I0+2+0+0], v[vgprValuA_X0_I0+8+0+0+1], a[124:127]
 // Ci += Ai*Br
/*  mfmaIndex:182  */
v_mfma_f32_16x16x4_f32 a[52+0:55+0], v[vgprValuB_X0_I0+2+0+0+1], v85, a[52:55]
 // Cr += -Ai*Bi
/*  mfmaIndex:183  */
v_mfma_f32_16x16x4_f32 a[124+0:127+0], v[vgprValuB_X0_I0+2+0+0+1], v[vgprValuA_X0_I0+8+0+0], a[124:127]
 // Ci += Ar*Bi
/*  mfmaIndex:184  */
v_add_f32 v85, -v[vgprValuA_X0_I0+10+0+0+1], 0     // Ai=-Ai
v_mfma_f32_16x16x4_f32 a[20+0:23+0], v[vgprValuB_X0_I0+0+0+0], v[vgprValuA_X0_I0+10+0+0], a[20:23]
 // Cr += Ar*Br
/*  mfmaIndex:185  */
v_mfma_f32_16x16x4_f32 a[92+0:95+0], v[vgprValuB_X0_I0+0+0+0], v[vgprValuA_X0_I0+10+0+0+1], a[92:95]
 // Ci += Ai*Br
/*  mfmaIndex:186  */
/* sched write - iter 2 writesPerItem=1 */
s_waitcnt vmcnt(0)                                 // lgkmcnt=-1 vmcnt=0wait for global read before writing to local
_ds_store_b64 v[vgprLocalWriteAddrA], v[vgprG2LA+6:vgprG2LA+6+1] offset:6528 // lwoA_0_0_3_0 = (0*LSCA)*(MT0I+PAD) + (3*LSPA) = 6528
v_mfma_f32_16x16x4_f32 a[20+0:23+0], v[vgprValuB_X0_I0+0+0+0+1], v85, a[20:23]
 // Cr += -Ai*Bi
/*  mfmaIndex:187  */
_buffer_load_b64 v[vgprG2LA+6:vgprG2LA+6+1], v[vgprGlobalReadOffsetA+0], s[sgprSrdA:sgprSrdA+3], s[sgprScalarGlobalReadOffsetA+2], offen offset:0 // G -> Reg 0_0_3_0
v_mfma_f32_16x16x4_f32 a[92+0:95+0], v[vgprValuB_X0_I0+0+0+0+1], v[vgprValuA_X0_I0+10+0+0], a[92:95]
 // Ci += Ar*Bi
/*  mfmaIndex:188  */
v_mfma_f32_16x16x4_f32 a[56+0:59+0], v[vgprValuB_X0_I0+2+0+0], v[vgprValuA_X0_I0+10+0+0], a[56:59]
 // Cr += Ar*Br
/*  mfmaIndex:189  */
v_mfma_f32_16x16x4_f32 a[128+0:131+0], v[vgprValuB_X0_I0+2+0+0], v[vgprValuA_X0_I0+10+0+0+1], a[128:131]
 // Ci += Ai*Br
/*  mfmaIndex:190  */
v_mfma_f32_16x16x4_f32 a[56+0:59+0], v[vgprValuB_X0_I0+2+0+0+1], v85, a[56:59]
 // Cr += -Ai*Bi
/*  mfmaIndex:191  */
v_mfma_f32_16x16x4_f32 a[128+0:131+0], v[vgprValuB_X0_I0+2+0+0+1], v[vgprValuA_X0_I0+10+0+0], a[128:131]
 // Ci += Ar*Bi
/*  mfmaIndex:192  */
v_add_f32 v85, -v[vgprValuA_X0_I0+12+0+0+1], 0     // Ai=-Ai
v_mfma_f32_16x16x4_f32 a[24+0:27+0], v[vgprValuB_X0_I0+0+0+0], v[vgprValuA_X0_I0+12+0+0], a[24:27]
 // Cr += Ar*Br
/*  mfmaIndex:193  */
v_mfma_f32_16x16x4_f32 a[96+0:99+0], v[vgprValuB_X0_I0+0+0+0], v[vgprValuA_X0_I0+12+0+0+1], a[96:99]
 // Ci += Ai*Br
/*  mfmaIndex:194  */
v_mfma_f32_16x16x4_f32 a[24+0:27+0], v[vgprValuB_X0_I0+0+0+0+1], v85, a[24:27]
 // Cr += -Ai*Bi
/*  mfmaIndex:195  */
v_mfma_f32_16x16x4_f32 a[96+0:99+0], v[vgprValuB_X0_I0+0+0+0+1], v[vgprValuA_X0_I0+12+0+0], a[96:99]
 // Ci += Ar*Bi
/*  mfmaIndex:196  */
/* sched write - iter 2 writesPerItem=1 */
s_waitcnt vmcnt(0)                                 // lgkmcnt=-1 vmcnt=0wait for global read before writing to local
_ds_store_b64 v[vgprLocalWriteAddrA], v[vgprG2LA+8:vgprG2LA+8+1] offset:8704 // lwoA_0_0_4_0 = (0*LSCA)*(MT0I+PAD) + (4*LSPA) = 8704
v_mfma_f32_16x16x4_f32 a[60+0:63+0], v[vgprValuB_X0_I0+2+0+0], v[vgprValuA_X0_I0+12+0+0], a[60:63]
 // Cr += Ar*Br
/*  mfmaIndex:197  */
_buffer_load_b64 v[vgprG2LA+8:vgprG2LA+8+1], v[vgprGlobalReadOffsetA+0], s[sgprSrdA:sgprSrdA+3], s[sgprScalarGlobalReadOffsetA+3], offen offset:0 // G -> Reg 0_0_4_0
v_mfma_f32_16x16x4_f32 a[132+0:135+0], v[vgprValuB_X0_I0+2+0+0], v[vgprValuA_X0_I0+12+0+0+1], a[132:135]
 // Ci += Ai*Br
/*  mfmaIndex:198  */
v_mfma_f32_16x16x4_f32 a[60+0:63+0], v[vgprValuB_X0_I0+2+0+0+1], v85, a[60:63]
 // Cr += -Ai*Bi
/*  mfmaIndex:199  */
v_mfma_f32_16x16x4_f32 a[132+0:135+0], v[vgprValuB_X0_I0+2+0+0+1], v[vgprValuA_X0_I0+12+0+0], a[132:135]
 // Ci += Ar*Bi
/*  mfmaIndex:200  */
v_add_f32 v85, -v[vgprValuA_X0_I0+14+0+0+1], 0     // Ai=-Ai
v_mfma_f32_16x16x4_f32 a[28+0:31+0], v[vgprValuB_X0_I0+0+0+0], v[vgprValuA_X0_I0+14+0+0], a[28:31]
 // Cr += Ar*Br
/*  mfmaIndex:201  */
v_mfma_f32_16x16x4_f32 a[100+0:103+0], v[vgprValuB_X0_I0+0+0+0], v[vgprValuA_X0_I0+14+0+0+1], a[100:103]
 // Ci += Ai*Br
/*  mfmaIndex:202  */
v_mfma_f32_16x16x4_f32 a[28+0:31+0], v[vgprValuB_X0_I0+0+0+0+1], v85, a[28:31]
 // Cr += -Ai*Bi
/*  mfmaIndex:203  */
v_mfma_f32_16x16x4_f32 a[100+0:103+0], v[vgprValuB_X0_I0+0+0+0+1], v[vgprValuA_X0_I0+14+0+0], a[100:103]
 // Ci += Ar*Bi
/*  mfmaIndex:204  */
v_mfma_f32_16x16x4_f32 a[64+0:67+0], v[vgprValuB_X0_I0+2+0+0], v[vgprValuA_X0_I0+14+0+0], a[64:67]
 // Cr += Ar*Br
/*  mfmaIndex:205  */
v_mfma_f32_16x16x4_f32 a[136+0:139+0], v[vgprValuB_X0_I0+2+0+0], v[vgprValuA_X0_I0+14+0+0+1], a[136:139]
 // Ci += Ai*Br
/*  mfmaIndex:206  */
/* sched write - iter 2 writesPerItem=1 */
s_waitcnt vmcnt(0)                                 // lgkmcnt=-1 vmcnt=0wait for global read before writing to local
_ds_store_b64 v[vgprLocalWriteAddrA], v[vgprG2LA+10:vgprG2LA+10+1] offset:10880 // lwoA_0_0_5_0 = (0*LSCA)*(MT0I+PAD) + (5*LSPA) = 10880
v_mfma_f32_16x16x4_f32 a[64+0:67+0], v[vgprValuB_X0_I0+2+0+0+1], v85, a[64:67]
 // Cr += -Ai*Bi
/*  mfmaIndex:207  */
_buffer_load_b64 v[vgprG2LA+10:vgprG2LA+10+1], v[vgprGlobalReadOffsetA+0], s[sgprSrdA:sgprSrdA+3], s[sgprScalarGlobalReadOffsetA+4], offen offset:0 // G -> Reg 0_0_5_0
v_mfma_f32_16x16x4_f32 a[136+0:139+0], v[vgprValuB_X0_I0+2+0+0+1], v[vgprValuA_X0_I0+14+0+0], a[136:139]
 // Ci += Ar*Bi
/*  mfmaIndex:208  */
v_add_f32 v85, -v[vgprValuA_X0_I0+16+0+0+1], 0     // Ai=-Ai
v_mfma_f32_16x16x4_f32 a[32+0:35+0], v[vgprValuB_X0_I0+0+0+0], v[vgprValuA_X0_I0+16+0+0], a[32:35]
 // Cr += Ar*Br
/*  mfmaIndex:209  */
v_mfma_f32_16x16x4_f32 a[104+0:107+0], v[vgprValuB_X0_I0+0+0+0], v[vgprValuA_X0_I0+16+0+0+1], a[104:107]
 // Ci += Ai*Br
/*  mfmaIndex:210  */
v_mfma_f32_16x16x4_f32 a[32+0:35+0], v[vgprValuB_X0_I0+0+0+0+1], v85, a[32:35]
 // Cr += -Ai*Bi
/*  mfmaIndex:211  */
v_mfma_f32_16x16x4_f32 a[104+0:107+0], v[vgprValuB_X0_I0+0+0+0+1], v[vgprValuA_X0_I0+16+0+0], a[104:107]
 // Ci += Ar*Bi
/*  mfmaIndex:212  */
v_mfma_f32_16x16x4_f32 a[68+0:71+0], v[vgprValuB_X0_I0+2+0+0], v[vgprValuA_X0_I0+16+0+0], a[68:71]
 // Cr += Ar*Br
/*  mfmaIndex:213  */
v_mfma_f32_16x16x4_f32 a[140+0:143+0], v[vgprValuB_X0_I0+2+0+0], v[vgprValuA_X0_I0+16+0+0+1], a[140:143]
 // Ci += Ai*Br
/*  mfmaIndex:214  */
v_mfma_f32_16x16x4_f32 a[68+0:71+0], v[vgprValuB_X0_I0+2+0+0+1], v85, a[68:71]
 // Cr += -Ai*Bi
/*  mfmaIndex:215  */

/* local read swap offsets a */

/* local read swap offsets b */

/* local read init pointers a */

/* localReadInitPointers */

/* local read init pointers b */

/* localReadInitPointers */
v_mfma_f32_16x16x4_f32 a[140+0:143+0], v[vgprValuB_X0_I0+2+0+0+1], v[vgprValuA_X0_I0+16+0+0], a[140:143]
 // Ci += Ar*Bi
/* numPrefetchIter=0 */
/* dataAtIterA=1 numReadsIterA=3 skipReadsIterA=1 readsPerIterA=9 */
/* dataAtIterB=1 numReadsIterB=3 skipReadsIterB=1 readsPerIterB=2 */


/* iter 3 (swap and reset local write pointers iteration)  */

/*  grEndMfmaIndex:6, lwStartMfmaIndex:156, lwEndMfmaIndex:277  */
/*  numMfmaForLR:8, barrierMfmaIndex:279, LocalWritePerMfma:0.100 */
/*  mfmaIndex:216  */
/* sched write - iter 3 writesPerItem=1 */
s_waitcnt vmcnt(0)                                 // lgkmcnt=-1 vmcnt=0wait for global read before writing to local
_ds_store_b64 v[vgprLocalWriteAddrA], v[vgprG2LA+12:vgprG2LA+12+1] offset:13056 // lwoA_0_0_6_0 = (0*LSCA)*(MT0I+PAD) + (6*LSPA) = 13056
s_waitcnt lgkmcnt(7)                               // lgkmcnt=0 vmcnt=-1wait for prior local read local write old=0, new=7 newLW=7 newLR=0
v_add_f32 v85, -v[vgprValuA_X1_I0+0+0+0+1], 0      // Ai=-Ai
v_mfma_f32_16x16x4_f32 a[0+0:3+0], v[vgprValuB_X1_I0+0+0+0], v[vgprValuA_X1_I0+0+0+0], a[0:3]
 // Cr += Ar*Br
/*  mfmaIndex:217  */
_buffer_load_b64 v[vgprG2LA+12:vgprG2LA+12+1], v[vgprGlobalReadOffsetA+0], s[sgprSrdA:sgprSrdA+3], s[sgprScalarGlobalReadOffsetA+5], offen offset:0 // G -> Reg 0_0_6_0
v_mfma_f32_16x16x4_f32 a[72+0:75+0], v[vgprValuB_X1_I0+0+0+0], v[vgprValuA_X1_I0+0+0+0+1], a[72:75]
 // Ci += Ai*Br
/*  mfmaIndex:218  */
v_mfma_f32_16x16x4_f32 a[0+0:3+0], v[vgprValuB_X1_I0+0+0+0+1], v85, a[0:3]
 // Cr += -Ai*Bi
/*  mfmaIndex:219  */
v_mfma_f32_16x16x4_f32 a[72+0:75+0], v[vgprValuB_X1_I0+0+0+0+1], v[vgprValuA_X1_I0+0+0+0], a[72:75]
 // Ci += Ar*Bi
/*  mfmaIndex:220  */
v_mfma_f32_16x16x4_f32 a[36+0:39+0], v[vgprValuB_X1_I0+2+0+0], v[vgprValuA_X1_I0+0+0+0], a[36:39]
 // Cr += Ar*Br
/*  mfmaIndex:221  */
v_mfma_f32_16x16x4_f32 a[108+0:111+0], v[vgprValuB_X1_I0+2+0+0], v[vgprValuA_X1_I0+0+0+0+1], a[108:111]
 // Ci += Ai*Br
/*  mfmaIndex:222  */
v_mfma_f32_16x16x4_f32 a[36+0:39+0], v[vgprValuB_X1_I0+2+0+0+1], v85, a[36:39]
 // Cr += -Ai*Bi
/*  mfmaIndex:223  */
v_mfma_f32_16x16x4_f32 a[108+0:111+0], v[vgprValuB_X1_I0+2+0+0+1], v[vgprValuA_X1_I0+0+0+0], a[108:111]
 // Ci += Ar*Bi
/*  mfmaIndex:224  */
v_add_f32 v85, -v[vgprValuA_X1_I0+2+0+0+1], 0      // Ai=-Ai
v_mfma_f32_16x16x4_f32 a[4+0:7+0], v[vgprValuB_X1_I0+0+0+0], v[vgprValuA_X1_I0+2+0+0], a[4:7]
 // Cr += Ar*Br
/*  mfmaIndex:225  */
v_mfma_f32_16x16x4_f32 a[76+0:79+0], v[vgprValuB_X1_I0+0+0+0], v[vgprValuA_X1_I0+2+0+0+1], a[76:79]
 // Ci += Ai*Br
/*  mfmaIndex:226  */
/* sched write - iter 3 writesPerItem=1 */
s_waitcnt vmcnt(0)                                 // lgkmcnt=-1 vmcnt=0wait for global read before writing to local
_ds_store_b64 v[vgprLocalWriteAddrA], v[vgprG2LA+14:vgprG2LA+14+1] offset:15232 // lwoA_0_0_7_0 = (0*LSCA)*(MT0I+PAD) + (7*LSPA) = 15232
v_mfma_f32_16x16x4_f32 a[4+0:7+0], v[vgprValuB_X1_I0+0+0+0+1], v85, a[4:7]
 // Cr += -Ai*Bi
/*  mfmaIndex:227  */
_buffer_load_b64 v[vgprG2LA+14:vgprG2LA+14+1], v[vgprGlobalReadOffsetA+0], s[sgprSrdA:sgprSrdA+3], s[sgprScalarGlobalReadOffsetA+6], offen offset:0 // G -> Reg 0_0_7_0
v_mfma_f32_16x16x4_f32 a[76+0:79+0], v[vgprValuB_X1_I0+0+0+0+1], v[vgprValuA_X1_I0+2+0+0], a[76:79]
 // Ci += Ar*Bi
/*  mfmaIndex:228  */
v_mfma_f32_16x16x4_f32 a[40+0:43+0], v[vgprValuB_X1_I0+2+0+0], v[vgprValuA_X1_I0+2+0+0], a[40:43]
 // Cr += Ar*Br
/*  mfmaIndex:229  */
v_mfma_f32_16x16x4_f32 a[112+0:115+0], v[vgprValuB_X1_I0+2+0+0], v[vgprValuA_X1_I0+2+0+0+1], a[112:115]
 // Ci += Ai*Br
/*  mfmaIndex:230  */
v_mfma_f32_16x16x4_f32 a[40+0:43+0], v[vgprValuB_X1_I0+2+0+0+1], v85, a[40:43]
 // Cr += -Ai*Bi
/*  mfmaIndex:231  */
v_mfma_f32_16x16x4_f32 a[112+0:115+0], v[vgprValuB_X1_I0+2+0+0+1], v[vgprValuA_X1_I0+2+0+0], a[112:115]
 // Ci += Ar*Bi
/*  mfmaIndex:232  */
v_add_f32 v85, -v[vgprValuA_X1_I0+4+0+0+1], 0      // Ai=-Ai
v_mfma_f32_16x16x4_f32 a[8+0:11+0], v[vgprValuB_X1_I0+0+0+0], v[vgprValuA_X1_I0+4+0+0], a[8:11]
 // Cr += Ar*Br
/*  mfmaIndex:233  */
v_mfma_f32_16x16x4_f32 a[80+0:83+0], v[vgprValuB_X1_I0+0+0+0], v[vgprValuA_X1_I0+4+0+0+1], a[80:83]
 // Ci += Ai*Br
/*  mfmaIndex:234  */
v_mfma_f32_16x16x4_f32 a[8+0:11+0], v[vgprValuB_X1_I0+0+0+0+1], v85, a[8:11]
 // Cr += -Ai*Bi
/*  mfmaIndex:235  */
v_mfma_f32_16x16x4_f32 a[80+0:83+0], v[vgprValuB_X1_I0+0+0+0+1], v[vgprValuA_X1_I0+4+0+0], a[80:83]
 // Ci += Ar*Bi
/*  mfmaIndex:236  */
/* sched write - iter 3 writesPerItem=1 */
s_waitcnt vmcnt(0)                                 // lgkmcnt=-1 vmcnt=0wait for global read before writing to local
_ds_store_b64 v[vgprLocalWriteAddrA], v[vgprG2LA+16:vgprG2LA+16+1] offset:17408 // lwoA_0_0_8_0 = (0*LSCA)*(MT0I+PAD) + (8*LSPA) = 17408
v_mfma_f32_16x16x4_f32 a[44+0:47+0], v[vgprValuB_X1_I0+2+0+0], v[vgprValuA_X1_I0+4+0+0], a[44:47]
 // Cr += Ar*Br
/*  mfmaIndex:237  */
_buffer_load_b64 v[vgprG2LA+16:vgprG2LA+16+1], v[vgprGlobalReadOffsetA+0], s[sgprSrdA:sgprSrdA+3], s[sgprScalarGlobalReadOffsetA+7], offen offset:0 // G -> Reg 0_0_8_0
v_mfma_f32_16x16x4_f32 a[116+0:119+0], v[vgprValuB_X1_I0+2+0+0], v[vgprValuA_X1_I0+4+0+0+1], a[116:119]
 // Ci += Ai*Br
/*  mfmaIndex:238  */
v_mfma_f32_16x16x4_f32 a[44+0:47+0], v[vgprValuB_X1_I0+2+0+0+1], v85, a[44:47]
 // Cr += -Ai*Bi
/*  mfmaIndex:239  */
v_mfma_f32_16x16x4_f32 a[116+0:119+0], v[vgprValuB_X1_I0+2+0+0+1], v[vgprValuA_X1_I0+4+0+0], a[116:119]
 // Ci += Ar*Bi
/*  mfmaIndex:240  */
v_add_f32 v85, -v[vgprValuA_X1_I0+6+0+0+1], 0      // Ai=-Ai
v_mfma_f32_16x16x4_f32 a[12+0:15+0], v[vgprValuB_X1_I0+0+0+0], v[vgprValuA_X1_I0+6+0+0], a[12:15]
 // Cr += Ar*Br
/*  mfmaIndex:241  */
v_mfma_f32_16x16x4_f32 a[84+0:87+0], v[vgprValuB_X1_I0+0+0+0], v[vgprValuA_X1_I0+6+0+0+1], a[84:87]
 // Ci += Ai*Br
/*  mfmaIndex:242  */
v_mfma_f32_16x16x4_f32 a[12+0:15+0], v[vgprValuB_X1_I0+0+0+0+1], v85, a[12:15]
 // Cr += -Ai*Bi
/*  mfmaIndex:243  */
v_mfma_f32_16x16x4_f32 a[84+0:87+0], v[vgprValuB_X1_I0+0+0+0+1], v[vgprValuA_X1_I0+6+0+0], a[84:87]
 // Ci += Ar*Bi
/*  mfmaIndex:244  */
v_mfma_f32_16x16x4_f32 a[48+0:51+0], v[vgprValuB_X1_I0+2+0+0], v[vgprValuA_X1_I0+6+0+0], a[48:51]
 // Cr += Ar*Br
/*  mfmaIndex:245  */
v_mfma_f32_16x16x4_f32 a[120+0:123+0], v[vgprValuB_X1_I0+2+0+0], v[vgprValuA_X1_I0+6+0+0+1], a[120:123]
 // Ci += Ai*Br
/*  mfmaIndex:246  */
/* sched write - iter 3 writesPerItem=1 */
s_waitcnt vmcnt(0)                                 // lgkmcnt=-1 vmcnt=0wait for global read before writing to local
_ds_store_b128 v[vgprLocalWriteAddrB], v[vgprG2LB+0:vgprG2LB+0+3] offset:0 // lwoB_0_0_0_0 = (0*LSCB)*(MT1J+PAD) + (0*LSPB) = 0
v_mfma_f32_16x16x4_f32 a[48+0:51+0], v[vgprValuB_X1_I0+2+0+0+1], v85, a[48:51]
 // Cr += -Ai*Bi
/*  mfmaIndex:247  */
_buffer_load_b128 v[vgprG2LB+0:vgprG2LB+0+3], v[vgprGlobalReadOffsetB+0], s[sgprSrdB:sgprSrdB+3], 0, offen offset:0 // G -> Reg 0_0_0_0
v_mfma_f32_16x16x4_f32 a[120+0:123+0], v[vgprValuB_X1_I0+2+0+0+1], v[vgprValuA_X1_I0+6+0+0], a[120:123]
 // Ci += Ar*Bi
/*  mfmaIndex:248  */
v_add_f32 v85, -v[vgprValuA_X1_I0+8+0+0+1], 0      // Ai=-Ai
v_mfma_f32_16x16x4_f32 a[16+0:19+0], v[vgprValuB_X1_I0+0+0+0], v[vgprValuA_X1_I0+8+0+0], a[16:19]
 // Cr += Ar*Br
/*  mfmaIndex:249  */
v_mfma_f32_16x16x4_f32 a[88+0:91+0], v[vgprValuB_X1_I0+0+0+0], v[vgprValuA_X1_I0+8+0+0+1], a[88:91]
 // Ci += Ai*Br
/*  mfmaIndex:250  */
v_mfma_f32_16x16x4_f32 a[16+0:19+0], v[vgprValuB_X1_I0+0+0+0+1], v85, a[16:19]
 // Cr += -Ai*Bi
/*  mfmaIndex:251  */
v_mfma_f32_16x16x4_f32 a[88+0:91+0], v[vgprValuB_X1_I0+0+0+0+1], v[vgprValuA_X1_I0+8+0+0], a[88:91]
 // Ci += Ar*Bi
/*  mfmaIndex:252  */
v_mfma_f32_16x16x4_f32 a[52+0:55+0], v[vgprValuB_X1_I0+2+0+0], v[vgprValuA_X1_I0+8+0+0], a[52:55]
 // Cr += Ar*Br
/*  mfmaIndex:253  */
v_mfma_f32_16x16x4_f32 a[124+0:127+0], v[vgprValuB_X1_I0+2+0+0], v[vgprValuA_X1_I0+8+0+0+1], a[124:127]
 // Ci += Ai*Br
/*  mfmaIndex:254  */
v_mfma_f32_16x16x4_f32 a[52+0:55+0], v[vgprValuB_X1_I0+2+0+0+1], v85, a[52:55]
 // Cr += -Ai*Bi
/*  mfmaIndex:255  */
v_mfma_f32_16x16x4_f32 a[124+0:127+0], v[vgprValuB_X1_I0+2+0+0+1], v[vgprValuA_X1_I0+8+0+0], a[124:127]
 // Ci += Ar*Bi
/*  mfmaIndex:256  */
/* sched write - iter 3 writesPerItem=1 */
s_waitcnt vmcnt(0)                                 // lgkmcnt=-1 vmcnt=0wait for global read before writing to local
_ds_store_b128 v[vgprLocalWriteAddrB], v[vgprG2LB+4:vgprG2LB+4+3] offset:4608 // lwoB_0_0_1_0 = (0*LSCB)*(MT1J+PAD) + (1*LSPB) = 4608
v_add_f32 v85, -v[vgprValuA_X1_I0+10+0+0+1], 0     // Ai=-Ai
v_mfma_f32_16x16x4_f32 a[20+0:23+0], v[vgprValuB_X1_I0+0+0+0], v[vgprValuA_X1_I0+10+0+0], a[20:23]
 // Cr += Ar*Br
/*  mfmaIndex:257  */
_buffer_load_b128 v[vgprG2LB+4:vgprG2LB+4+3], v[vgprGlobalReadOffsetB+0], s[sgprSrdB:sgprSrdB+3], s[sgprScalarGlobalReadOffsetB+0], offen offset:0 // G -> Reg 0_0_1_0
v_mfma_f32_16x16x4_f32 a[92+0:95+0], v[vgprValuB_X1_I0+0+0+0], v[vgprValuA_X1_I0+10+0+0+1], a[92:95]
 // Ci += Ai*Br
/*  mfmaIndex:258  */
v_mfma_f32_16x16x4_f32 a[20+0:23+0], v[vgprValuB_X1_I0+0+0+0+1], v85, a[20:23]
 // Cr += -Ai*Bi
/*  mfmaIndex:259  */
v_mfma_f32_16x16x4_f32 a[92+0:95+0], v[vgprValuB_X1_I0+0+0+0+1], v[vgprValuA_X1_I0+10+0+0], a[92:95]
 // Ci += Ar*Bi
/*  mfmaIndex:260  */
v_mfma_f32_16x16x4_f32 a[56+0:59+0], v[vgprValuB_X1_I0+2+0+0], v[vgprValuA_X1_I0+10+0+0], a[56:59]
 // Cr += Ar*Br
/*  mfmaIndex:261  */
v_mfma_f32_16x16x4_f32 a[128+0:131+0], v[vgprValuB_X1_I0+2+0+0], v[vgprValuA_X1_I0+10+0+0+1], a[128:131]
 // Ci += Ai*Br
/*  mfmaIndex:262  */
v_mfma_f32_16x16x4_f32 a[56+0:59+0], v[vgprValuB_X1_I0+2+0+0+1], v85, a[56:59]
 // Cr += -Ai*Bi
/*  mfmaIndex:263  */
v_mfma_f32_16x16x4_f32 a[128+0:131+0], v[vgprValuB_X1_I0+2+0+0+1], v[vgprValuA_X1_I0+10+0+0], a[128:131]
 // Ci += Ar*Bi
/*  mfmaIndex:264  */
v_add_f32 v85, -v[vgprValuA_X1_I0+12+0+0+1], 0     // Ai=-Ai
v_mfma_f32_16x16x4_f32 a[24+0:27+0], v[vgprValuB_X1_I0+0+0+0], v[vgprValuA_X1_I0+12+0+0], a[24:27]
 // Cr += Ar*Br
/*  mfmaIndex:265  */
v_mfma_f32_16x16x4_f32 a[96+0:99+0], v[vgprValuB_X1_I0+0+0+0], v[vgprValuA_X1_I0+12+0+0+1], a[96:99]
 // Ci += Ai*Br
/*  mfmaIndex:266  */
/* sched write - iter 3 writesPerItem=1 */
s_waitcnt vmcnt(0)                                 // lgkmcnt=-1 vmcnt=0wait for global read before writing to local
_ds_store_b128 v[vgprLocalWriteAddrB], v[vgprG2LB+8:vgprG2LB+8+3] offset:9216 // lwoB_0_0_2_0 = (0*LSCB)*(MT1J+PAD) + (2*LSPB) = 9216
v_mfma_f32_16x16x4_f32 a[24+0:27+0], v[vgprValuB_X1_I0+0+0+0+1], v85, a[24:27]
 // Cr += -Ai*Bi
/*  mfmaIndex:267  */
_buffer_load_b128 v[vgprG2LB+8:vgprG2LB+8+3], v[vgprGlobalReadOffsetB+0], s[sgprSrdB:sgprSrdB+3], s[sgprScalarGlobalReadOffsetB+1], offen offset:0 // G -> Reg 0_0_2_0
v_mfma_f32_16x16x4_f32 a[96+0:99+0], v[vgprValuB_X1_I0+0+0+0+1], v[vgprValuA_X1_I0+12+0+0], a[96:99]
 // Ci += Ar*Bi
/*  mfmaIndex:268  */
v_mfma_f32_16x16x4_f32 a[60+0:63+0], v[vgprValuB_X1_I0+2+0+0], v[vgprValuA_X1_I0+12+0+0], a[60:63]
 // Cr += Ar*Br
/*  mfmaIndex:269  */
v_mfma_f32_16x16x4_f32 a[132+0:135+0], v[vgprValuB_X1_I0+2+0+0], v[vgprValuA_X1_I0+12+0+0+1], a[132:135]
 // Ci += Ai*Br
/*  mfmaIndex:270  */
v_mfma_f32_16x16x4_f32 a[60+0:63+0], v[vgprValuB_X1_I0+2+0+0+1], v85, a[60:63]
 // Cr += -Ai*Bi
/*  mfmaIndex:271  */
v_mfma_f32_16x16x4_f32 a[132+0:135+0], v[vgprValuB_X1_I0+2+0+0+1], v[vgprValuA_X1_I0+12+0+0], a[132:135]
 // Ci += Ar*Bi
/*  mfmaIndex:272  */
v_add_f32 v85, -v[vgprValuA_X1_I0+14+0+0+1], 0     // Ai=-Ai
v_mfma_f32_16x16x4_f32 a[28+0:31+0], v[vgprValuB_X1_I0+0+0+0], v[vgprValuA_X1_I0+14+0+0], a[28:31]
 // Cr += Ar*Br
/*  mfmaIndex:273  */
v_mfma_f32_16x16x4_f32 a[100+0:103+0], v[vgprValuB_X1_I0+0+0+0], v[vgprValuA_X1_I0+14+0+0+1], a[100:103]
 // Ci += Ai*Br
/*  mfmaIndex:274  */
v_mfma_f32_16x16x4_f32 a[28+0:31+0], v[vgprValuB_X1_I0+0+0+0+1], v85, a[28:31]
 // Cr += -Ai*Bi
/*  mfmaIndex:275  */
v_mfma_f32_16x16x4_f32 a[100+0:103+0], v[vgprValuB_X1_I0+0+0+0+1], v[vgprValuA_X1_I0+14+0+0], a[100:103]
 // Ci += Ar*Bi
/*  mfmaIndex:276  */
/* sched write - iter 3 writesPerItem=1 */
s_waitcnt vmcnt(0)                                 // lgkmcnt=-1 vmcnt=0wait for global read before writing to local
_ds_store_b128 v[vgprLocalWriteAddrB], v[vgprG2LB+12:vgprG2LB+12+3] offset:13824 // lwoB_0_0_3_0 = (0*LSCB)*(MT1J+PAD) + (3*LSPB) = 13824
v_mfma_f32_16x16x4_f32 a[64+0:67+0], v[vgprValuB_X1_I0+2+0+0], v[vgprValuA_X1_I0+14+0+0], a[64:67]
 // Cr += Ar*Br
/*  mfmaIndex:277  */
_buffer_load_b128 v[vgprG2LB+12:vgprG2LB+12+3], v[vgprGlobalReadOffsetB+0], s[sgprSrdB:sgprSrdB+3], s[sgprScalarGlobalReadOffsetB+2], offen offset:0 // G -> Reg 0_0_3_0

/* local write swap offsets a */

/* local write swap offsets b */
v_mfma_f32_16x16x4_f32 a[136+0:139+0], v[vgprValuB_X1_I0+2+0+0], v[vgprValuA_X1_I0+14+0+0+1], a[136:139]
 // Ci += Ai*Br
/*  mfmaIndex:278  */
v_mfma_f32_16x16x4_f32 a[64+0:67+0], v[vgprValuB_X1_I0+2+0+0+1], v85, a[64:67]
 // Cr += -Ai*Bi
s_setprio 0                                        // store optimization
/*  mfmaIndex:279  */
s_waitcnt lgkmcnt(0)                               // lgkmcnt=0 vmcnt=-13wait for local write
// Skip force waitcnt0
s_barrier //
v_mfma_f32_16x16x4_f32 a[136+0:139+0], v[vgprValuB_X1_I0+2+0+0+1], v[vgprValuA_X1_I0+14+0+0], a[136:139]
 // Ci += Ar*Bi
/*  mfmaIndex:280  */
s_setprio 3                                        // store optimization
_ds_load_b64 v[vgprValuA_X0_I0+0:vgprValuA_X0_I0+0+1], v[vgprLocalReadAddrA] offset:0 // L -> Reg lro=0 swapByteOffset=0 ti=16 vIdx=0 rIdx=0 oIdx=0 buffer=0 iui=0
_ds_load_b64 v[vgprValuB_X0_I0+0:vgprValuB_X0_I0+0+1], v[vgprLocalReadAddrB] offset:0 // L -> Reg lro=0 swapByteOffset=0 ti=64 vIdx=0 rIdx=0 oIdx=0 buffer=0 iui=0
v_add_f32 v85, -v[vgprValuA_X1_I0+16+0+0+1], 0     // Ai=-Ai
v_mfma_f32_16x16x4_f32 a[32+0:35+0], v[vgprValuB_X1_I0+0+0+0], v[vgprValuA_X1_I0+16+0+0], a[32:35]
 // Cr += Ar*Br
/*  mfmaIndex:281  */
_ds_load_b64 v[vgprValuA_X0_I0+2:vgprValuA_X0_I0+2+1], v[vgprLocalReadAddrA] offset:2176 // L -> Reg lro=0 swapByteOffset=0 ti=16 vIdx=1 rIdx=0 oIdx=0 buffer=0 iui=0
_ds_load_b64 v[vgprValuA_X0_I0+4:vgprValuA_X0_I0+4+1], v[vgprLocalReadAddrA] offset:4352 // L -> Reg lro=0 swapByteOffset=0 ti=16 vIdx=2 rIdx=0 oIdx=0 buffer=0 iui=0
v_mfma_f32_16x16x4_f32 a[104+0:107+0], v[vgprValuB_X1_I0+0+0+0], v[vgprValuA_X1_I0+16+0+0+1], a[104:107]
 // Ci += Ai*Br
/*  mfmaIndex:282  */
_ds_load_b64 v[vgprValuA_X0_I0+6:vgprValuA_X0_I0+6+1], v[vgprLocalReadAddrA] offset:6528 // L -> Reg lro=0 swapByteOffset=0 ti=16 vIdx=3 rIdx=0 oIdx=0 buffer=0 iui=0
_ds_load_b64 v[vgprValuA_X0_I0+8:vgprValuA_X0_I0+8+1], v[vgprLocalReadAddrA] offset:8704 // L -> Reg lro=0 swapByteOffset=0 ti=16 vIdx=4 rIdx=0 oIdx=0 buffer=0 iui=0
v_mfma_f32_16x16x4_f32 a[32+0:35+0], v[vgprValuB_X1_I0+0+0+0+1], v85, a[32:35]
 // Cr += -Ai*Bi
/*  mfmaIndex:283  */
_ds_load_b64 v[vgprValuA_X0_I0+10:vgprValuA_X0_I0+10+1], v[vgprLocalReadAddrA] offset:10880 // L -> Reg lro=0 swapByteOffset=0 ti=16 vIdx=5 rIdx=0 oIdx=0 buffer=0 iui=0
_ds_load_b64 v[vgprValuA_X0_I0+12:vgprValuA_X0_I0+12+1], v[vgprLocalReadAddrA] offset:13056 // L -> Reg lro=0 swapByteOffset=0 ti=16 vIdx=6 rIdx=0 oIdx=0 buffer=0 iui=0
v_mfma_f32_16x16x4_f32 a[104+0:107+0], v[vgprValuB_X1_I0+0+0+0+1], v[vgprValuA_X1_I0+16+0+0], a[104:107]
 // Ci += Ar*Bi
/*  mfmaIndex:284  */
_ds_load_b64 v[vgprValuA_X0_I0+14:vgprValuA_X0_I0+14+1], v[vgprLocalReadAddrA] offset:15232 // L -> Reg lro=0 swapByteOffset=0 ti=16 vIdx=7 rIdx=0 oIdx=0 buffer=0 iui=0
_ds_load_b64 v[vgprValuA_X0_I0+16:vgprValuA_X0_I0+16+1], v[vgprLocalReadAddrA] offset:17408 // L -> Reg lro=0 swapByteOffset=0 ti=16 vIdx=8 rIdx=0 oIdx=0 buffer=0 iui=0
v_mfma_f32_16x16x4_f32 a[68+0:71+0], v[vgprValuB_X1_I0+2+0+0], v[vgprValuA_X1_I0+16+0+0], a[68:71]
 // Cr += Ar*Br
/*  mfmaIndex:285  */
_ds_load_b64 v[vgprValuB_X0_I0+2:vgprValuB_X0_I0+2+1], v[vgprLocalReadAddrB] offset:9216 // L -> Reg lro=0 swapByteOffset=0 ti=64 vIdx=1 rIdx=0 oIdx=0 buffer=0 iui=0
v_mfma_f32_16x16x4_f32 a[140+0:143+0], v[vgprValuB_X1_I0+2+0+0], v[vgprValuA_X1_I0+16+0+0+1], a[140:143]
 // Ci += Ai*Br
/*  mfmaIndex:286  */
v_mfma_f32_16x16x4_f32 a[68+0:71+0], v[vgprValuB_X1_I0+2+0+0+1], v85, a[68:71]
 // Cr += -Ai*Bi
/*  mfmaIndex:287  */
v_mfma_f32_16x16x4_f32 a[140+0:143+0], v[vgprValuB_X1_I0+2+0+0+1], v[vgprValuA_X1_I0+16+0+0], a[140:143]
 // Ci += Ar*Bi
s_setprio 0                                        // store optimization
/* numPrefetchIter=1 */
/* dataAtIterA=2 numReadsIterA=3 skipReadsIterA=1 readsPerIterA=9 */
/* dataAtIterB=2 numReadsIterB=3 skipReadsIterB=1 readsPerIterB=2 */


/******************************************/
/* Unrolled Loop - End 2/2 (final)        */
/******************************************/


/* closeLoop loopL finalLoop=1 tailLoop=0 */
s_sub_u32 s[sgprLoopCounterL], s[sgprLoopCounterL], 1 // dec counterL
s_cmp_eq_i32 s[sgprLoopCounterL], 0x2              // counterL==2
s_cbranch_scc0 LoopBeginL_1                        // restart LoopL
LoopEndL_evenexit_4: // unroll loop eveniter exit
s_branch LoopEndL_2                                // exit unroll loopL (and skip second exit code)
LoopEndL_oddexit_3: // unroll loop odditer exit

/* Select high bank of LDS */
LoopEndL_2:


/* Before NLL: Check VGPR.checkin for INT8 LW */


/******************************************/
/* Ord. NoGlobalLoadLoop - Begin                                      */
/******************************************/


	;; [unrolled: 1-line block ×3, first 2 shown]
/* iter 0 */

/*  grEndMfmaIndex:6, lwStartMfmaIndex:156, lwEndMfmaIndex:277  */
/*  numMfmaForLR:8, barrierMfmaIndex:279, LocalWritePerMfma:0.100 */
/*  mfmaIndex:0  */
s_waitcnt lgkmcnt(0)                               // lgkmcnt=0 vmcnt=-1wait for prior local read local write old=0, new=0 newLW=0 newLR=0
v_add_f32 v85, -v[vgprValuA_X0_I0+0+0+0+1], 0      // Ai=-Ai
v_mfma_f32_16x16x4_f32 a[0+0:3+0], v[vgprValuB_X0_I0+0+0+0], v[vgprValuA_X0_I0+0+0+0], a[0:3]
 // Cr += Ar*Br
/*  mfmaIndex:1  */
_ds_load_b64 v[vgprValuA_X1_I0+0:vgprValuA_X1_I0+0+1], v[vgprLocalReadAddrA] offset:32 // L -> Reg lro=4 swapByteOffset=0 ti=16 vIdx=0 rIdx=0 oIdx=0 buffer=1 iui=0
_ds_load_b64 v[vgprValuB_X1_I0+0:vgprValuB_X1_I0+0+1], v[vgprLocalReadAddrB] offset:32 // L -> Reg lro=4 swapByteOffset=0 ti=64 vIdx=0 rIdx=0 oIdx=0 buffer=1 iui=0

/* global read inc A loopL */
s_cmp_eq_u32 s[sgprLoopCounterL], s[sgprStaggerUIter] // Is this the wrapIter?
s_cselect_b32 s72, s[sgprWrapUA+0], s[sgprGlobalReadIncsA+0] // incLower <- ?
s_cselect_b32 s73, s[sgprWrapUA+1], 0              // incUpper <- ?
v_mfma_f32_16x16x4_f32 a[72+0:75+0], v[vgprValuB_X0_I0+0+0+0], v[vgprValuA_X0_I0+0+0+0+1], a[72:75]
 // Ci += Ai*Br
/*  mfmaIndex:2  */
_ds_load_b64 v[vgprValuA_X1_I0+2:vgprValuA_X1_I0+2+1], v[vgprLocalReadAddrA] offset:2208 // L -> Reg lro=4 swapByteOffset=0 ti=16 vIdx=1 rIdx=0 oIdx=0 buffer=1 iui=0
_ds_load_b64 v[vgprValuA_X1_I0+4:vgprValuA_X1_I0+4+1], v[vgprLocalReadAddrA] offset:4384 // L -> Reg lro=4 swapByteOffset=0 ti=16 vIdx=2 rIdx=0 oIdx=0 buffer=1 iui=0
s_add_u32 s[sgprSrdA+0], s[sgprSrdA+0], s72        // gra SRD += inc(lower)
s_addc_u32  s[sgprSrdA+1], s[sgprSrdA+1], s73      // gra SRD += inc(upper)
s_sub_u32 s[sgprShadowLimitA+0], s[sgprShadowLimitA+0], s72 // limit -= inc)
v_mfma_f32_16x16x4_f32 a[0+0:3+0], v[vgprValuB_X0_I0+0+0+0+1], v85, a[0:3]
 // Cr += -Ai*Bi
/*  mfmaIndex:3  */
_ds_load_b64 v[vgprValuA_X1_I0+6:vgprValuA_X1_I0+6+1], v[vgprLocalReadAddrA] offset:6560 // L -> Reg lro=4 swapByteOffset=0 ti=16 vIdx=3 rIdx=0 oIdx=0 buffer=1 iui=0
_ds_load_b64 v[vgprValuA_X1_I0+8:vgprValuA_X1_I0+8+1], v[vgprLocalReadAddrA] offset:8736 // L -> Reg lro=4 swapByteOffset=0 ti=16 vIdx=4 rIdx=0 oIdx=0 buffer=1 iui=0
s_subb_u32 s[sgprShadowLimitA+1], s[sgprShadowLimitA+1], s73 // limit -= inc)
s_cmp_eq_u32 s[sgprShadowLimitA+1], 0              // are we within 2^32?
s_cselect_b32 s[sgprSrdA+2], s[sgprShadowLimitA+0], BufferLimitA // Move shadow to real if we are within 2^32
v_mfma_f32_16x16x4_f32 a[72+0:75+0], v[vgprValuB_X0_I0+0+0+0+1], v[vgprValuA_X0_I0+0+0+0], a[72:75]
 // Ci += Ar*Bi
/*  mfmaIndex:4  */
_ds_load_b64 v[vgprValuA_X1_I0+10:vgprValuA_X1_I0+10+1], v[vgprLocalReadAddrA] offset:10912 // L -> Reg lro=4 swapByteOffset=0 ti=16 vIdx=5 rIdx=0 oIdx=0 buffer=1 iui=0
_ds_load_b64 v[vgprValuA_X1_I0+12:vgprValuA_X1_I0+12+1], v[vgprLocalReadAddrA] offset:13088 // L -> Reg lro=4 swapByteOffset=0 ti=16 vIdx=6 rIdx=0 oIdx=0 buffer=1 iui=0

/* global read inc B loopL */
s_cmp_eq_u32 s[sgprLoopCounterL], s[sgprStaggerUIter] // Is this the wrapIter?
s_cselect_b32 s72, s[sgprWrapUB+0], s[sgprGlobalReadIncsB+0] // incLower <- ?
s_cselect_b32 s73, s[sgprWrapUB+1], 0              // incUpper <- ?
v_mfma_f32_16x16x4_f32 a[36+0:39+0], v[vgprValuB_X0_I0+2+0+0], v[vgprValuA_X0_I0+0+0+0], a[36:39]
 // Cr += Ar*Br
/*  mfmaIndex:5  */
_ds_load_b64 v[vgprValuA_X1_I0+14:vgprValuA_X1_I0+14+1], v[vgprLocalReadAddrA] offset:15264 // L -> Reg lro=4 swapByteOffset=0 ti=16 vIdx=7 rIdx=0 oIdx=0 buffer=1 iui=0
_ds_load_b64 v[vgprValuA_X1_I0+16:vgprValuA_X1_I0+16+1], v[vgprLocalReadAddrA] offset:17440 // L -> Reg lro=4 swapByteOffset=0 ti=16 vIdx=8 rIdx=0 oIdx=0 buffer=1 iui=0
s_add_u32 s[sgprSrdB+0], s[sgprSrdB+0], s72        // gra SRD += inc(lower)
s_addc_u32  s[sgprSrdB+1], s[sgprSrdB+1], s73      // gra SRD += inc(upper)
s_sub_u32 s[sgprShadowLimitB+0], s[sgprShadowLimitB+0], s72 // limit -= inc)
v_mfma_f32_16x16x4_f32 a[108+0:111+0], v[vgprValuB_X0_I0+2+0+0], v[vgprValuA_X0_I0+0+0+0+1], a[108:111]
 // Ci += Ai*Br
/*  mfmaIndex:6  */
_ds_load_b64 v[vgprValuB_X1_I0+2:vgprValuB_X1_I0+2+1], v[vgprLocalReadAddrB] offset:9248 // L -> Reg lro=4 swapByteOffset=0 ti=64 vIdx=1 rIdx=0 oIdx=0 buffer=1 iui=0
/* localReadsVacancy: latencyLeft 3 */
s_subb_u32 s[sgprShadowLimitB+1], s[sgprShadowLimitB+1], s73 // limit -= inc)
s_cmp_eq_u32 s[sgprShadowLimitB+1], 0              // are we within 2^32?
s_cselect_b32 s[sgprSrdB+2], s[sgprShadowLimitB+0], BufferLimitB // Move shadow to real if we are within 2^32
v_mfma_f32_16x16x4_f32 a[36+0:39+0], v[vgprValuB_X0_I0+2+0+0+1], v85, a[36:39]
 // Cr += -Ai*Bi
/*  mfmaIndex:7  */
/* localReadsVacancy: latencyLeft 5 */
v_mfma_f32_16x16x4_f32 a[108+0:111+0], v[vgprValuB_X0_I0+2+0+0+1], v[vgprValuA_X0_I0+0+0+0], a[108:111]
 // Ci += Ar*Bi
/*  mfmaIndex:8  */
/* localReadsVacancy: latencyLeft 5 */
v_add_f32 v85, -v[vgprValuA_X0_I0+2+0+0+1], 0      // Ai=-Ai
v_mfma_f32_16x16x4_f32 a[4+0:7+0], v[vgprValuB_X0_I0+0+0+0], v[vgprValuA_X0_I0+2+0+0], a[4:7]
 // Cr += Ar*Br
/*  mfmaIndex:9  */
/* localReadsVacancy: latencyLeft 5 */
v_mfma_f32_16x16x4_f32 a[76+0:79+0], v[vgprValuB_X0_I0+0+0+0], v[vgprValuA_X0_I0+2+0+0+1], a[76:79]
 // Ci += Ai*Br
/*  mfmaIndex:10  */
/* localReadsVacancy: latencyLeft 5 */
v_mfma_f32_16x16x4_f32 a[4+0:7+0], v[vgprValuB_X0_I0+0+0+0+1], v85, a[4:7]
 // Cr += -Ai*Bi
/*  mfmaIndex:11  */
/* localReadsVacancy: latencyLeft 5 */
v_mfma_f32_16x16x4_f32 a[76+0:79+0], v[vgprValuB_X0_I0+0+0+0+1], v[vgprValuA_X0_I0+2+0+0], a[76:79]
 // Ci += Ar*Bi
/*  mfmaIndex:12  */
/* localReadsVacancy: latencyLeft 5 */
v_mfma_f32_16x16x4_f32 a[40+0:43+0], v[vgprValuB_X0_I0+2+0+0], v[vgprValuA_X0_I0+2+0+0], a[40:43]
 // Cr += Ar*Br
/*  mfmaIndex:13  */
/* localReadsVacancy: latencyLeft 5 */
v_mfma_f32_16x16x4_f32 a[112+0:115+0], v[vgprValuB_X0_I0+2+0+0], v[vgprValuA_X0_I0+2+0+0+1], a[112:115]
 // Ci += Ai*Br
/*  mfmaIndex:14  */
/* localReadsVacancy: latencyLeft 5 */
v_mfma_f32_16x16x4_f32 a[40+0:43+0], v[vgprValuB_X0_I0+2+0+0+1], v85, a[40:43]
 // Cr += -Ai*Bi
/*  mfmaIndex:15  */
/* localReadsVacancy: latencyLeft 5 */
v_mfma_f32_16x16x4_f32 a[112+0:115+0], v[vgprValuB_X0_I0+2+0+0+1], v[vgprValuA_X0_I0+2+0+0], a[112:115]
 // Ci += Ar*Bi
/*  mfmaIndex:16  */
/* localReadsVacancy: latencyLeft 5 */
v_add_f32 v85, -v[vgprValuA_X0_I0+4+0+0+1], 0      // Ai=-Ai
v_mfma_f32_16x16x4_f32 a[8+0:11+0], v[vgprValuB_X0_I0+0+0+0], v[vgprValuA_X0_I0+4+0+0], a[8:11]
 // Cr += Ar*Br
/*  mfmaIndex:17  */
/* localReadsVacancy: latencyLeft 5 */
v_mfma_f32_16x16x4_f32 a[80+0:83+0], v[vgprValuB_X0_I0+0+0+0], v[vgprValuA_X0_I0+4+0+0+1], a[80:83]
 // Ci += Ai*Br
/*  mfmaIndex:18  */
/* localReadsVacancy: latencyLeft 5 */
v_mfma_f32_16x16x4_f32 a[8+0:11+0], v[vgprValuB_X0_I0+0+0+0+1], v85, a[8:11]
 // Cr += -Ai*Bi
/*  mfmaIndex:19  */
/* localReadsVacancy: latencyLeft 5 */
v_mfma_f32_16x16x4_f32 a[80+0:83+0], v[vgprValuB_X0_I0+0+0+0+1], v[vgprValuA_X0_I0+4+0+0], a[80:83]
 // Ci += Ar*Bi
/*  mfmaIndex:20  */
/* localReadsVacancy: latencyLeft 5 */
v_mfma_f32_16x16x4_f32 a[44+0:47+0], v[vgprValuB_X0_I0+2+0+0], v[vgprValuA_X0_I0+4+0+0], a[44:47]
 // Cr += Ar*Br
/*  mfmaIndex:21  */
/* localReadsVacancy: latencyLeft 5 */
v_mfma_f32_16x16x4_f32 a[116+0:119+0], v[vgprValuB_X0_I0+2+0+0], v[vgprValuA_X0_I0+4+0+0+1], a[116:119]
 // Ci += Ai*Br
/*  mfmaIndex:22  */
/* localReadsVacancy: latencyLeft 5 */
	;; [unrolled: 33-line block ×4, first 2 shown]
v_mfma_f32_16x16x4_f32 a[52+0:55+0], v[vgprValuB_X0_I0+2+0+0+1], v85, a[52:55]
 // Cr += -Ai*Bi
/*  mfmaIndex:39  */
/* localReadsVacancy: latencyLeft 5 */
v_mfma_f32_16x16x4_f32 a[124+0:127+0], v[vgprValuB_X0_I0+2+0+0+1], v[vgprValuA_X0_I0+8+0+0], a[124:127]
 // Ci += Ar*Bi
/*  mfmaIndex:40  */
/* localReadsVacancy: latencyLeft 5 */
v_add_f32 v85, -v[vgprValuA_X0_I0+10+0+0+1], 0     // Ai=-Ai
v_mfma_f32_16x16x4_f32 a[20+0:23+0], v[vgprValuB_X0_I0+0+0+0], v[vgprValuA_X0_I0+10+0+0], a[20:23]
 // Cr += Ar*Br
/*  mfmaIndex:41  */
/* localReadsVacancy: latencyLeft 5 */
v_mfma_f32_16x16x4_f32 a[92+0:95+0], v[vgprValuB_X0_I0+0+0+0], v[vgprValuA_X0_I0+10+0+0+1], a[92:95]
 // Ci += Ai*Br
/*  mfmaIndex:42  */
/* localReadsVacancy: latencyLeft 5 */
v_mfma_f32_16x16x4_f32 a[20+0:23+0], v[vgprValuB_X0_I0+0+0+0+1], v85, a[20:23]
 // Cr += -Ai*Bi
/*  mfmaIndex:43  */
/* localReadsVacancy: latencyLeft 5 */
v_mfma_f32_16x16x4_f32 a[92+0:95+0], v[vgprValuB_X0_I0+0+0+0+1], v[vgprValuA_X0_I0+10+0+0], a[92:95]
 // Ci += Ar*Bi
/*  mfmaIndex:44  */
/* localReadsVacancy: latencyLeft 5 */
v_mfma_f32_16x16x4_f32 a[56+0:59+0], v[vgprValuB_X0_I0+2+0+0], v[vgprValuA_X0_I0+10+0+0], a[56:59]
 // Cr += Ar*Br
/*  mfmaIndex:45  */
/* localReadsVacancy: latencyLeft 5 */
v_mfma_f32_16x16x4_f32 a[128+0:131+0], v[vgprValuB_X0_I0+2+0+0], v[vgprValuA_X0_I0+10+0+0+1], a[128:131]
 // Ci += Ai*Br
/*  mfmaIndex:46  */
/* localReadsVacancy: latencyLeft 5 */
v_mfma_f32_16x16x4_f32 a[56+0:59+0], v[vgprValuB_X0_I0+2+0+0+1], v85, a[56:59]
 // Cr += -Ai*Bi
/*  mfmaIndex:47  */
/* localReadsVacancy: latencyLeft 5 */
v_mfma_f32_16x16x4_f32 a[128+0:131+0], v[vgprValuB_X0_I0+2+0+0+1], v[vgprValuA_X0_I0+10+0+0], a[128:131]
 // Ci += Ar*Bi
/*  mfmaIndex:48  */
/* localReadsVacancy: latencyLeft 5 */
v_add_f32 v85, -v[vgprValuA_X0_I0+12+0+0+1], 0     // Ai=-Ai
v_mfma_f32_16x16x4_f32 a[24+0:27+0], v[vgprValuB_X0_I0+0+0+0], v[vgprValuA_X0_I0+12+0+0], a[24:27]
 // Cr += Ar*Br
/*  mfmaIndex:49  */
/* localReadsVacancy: latencyLeft 5 */
v_mfma_f32_16x16x4_f32 a[96+0:99+0], v[vgprValuB_X0_I0+0+0+0], v[vgprValuA_X0_I0+12+0+0+1], a[96:99]
 // Ci += Ai*Br
/*  mfmaIndex:50  */
/* localReadsVacancy: latencyLeft 5 */
v_mfma_f32_16x16x4_f32 a[24+0:27+0], v[vgprValuB_X0_I0+0+0+0+1], v85, a[24:27]
 // Cr += -Ai*Bi
/*  mfmaIndex:51  */
/* localReadsVacancy: latencyLeft 5 */
v_mfma_f32_16x16x4_f32 a[96+0:99+0], v[vgprValuB_X0_I0+0+0+0+1], v[vgprValuA_X0_I0+12+0+0], a[96:99]
 // Ci += Ar*Bi
/*  mfmaIndex:52  */
/* localReadsVacancy: latencyLeft 5 */
v_mfma_f32_16x16x4_f32 a[60+0:63+0], v[vgprValuB_X0_I0+2+0+0], v[vgprValuA_X0_I0+12+0+0], a[60:63]
 // Cr += Ar*Br
/*  mfmaIndex:53  */
/* localReadsVacancy: latencyLeft 5 */
v_mfma_f32_16x16x4_f32 a[132+0:135+0], v[vgprValuB_X0_I0+2+0+0], v[vgprValuA_X0_I0+12+0+0+1], a[132:135]
 // Ci += Ai*Br
/*  mfmaIndex:54  */
/* localReadsVacancy: latencyLeft 5 */
	;; [unrolled: 33-line block ×4, first 2 shown]
v_mfma_f32_16x16x4_f32 a[68+0:71+0], v[vgprValuB_X0_I0+2+0+0+1], v85, a[68:71]
 // Cr += -Ai*Bi
/*  mfmaIndex:71  */
/* localReadsVacancy: latencyLeft 5 */
v_mfma_f32_16x16x4_f32 a[140+0:143+0], v[vgprValuB_X0_I0+2+0+0+1], v[vgprValuA_X0_I0+16+0+0], a[140:143]
 // Ci += Ar*Bi
/* numPrefetchIter=0 */
/* dataAtIterA=-1 numReadsIterA=1 skipReadsIterA=1 readsPerIterA=9 */
/* dataAtIterB=-1 numReadsIterB=1 skipReadsIterB=1 readsPerIterB=2 */


/* iter 1 */

/*  grEndMfmaIndex:6, lwStartMfmaIndex:156, lwEndMfmaIndex:277  */
/*  numMfmaForLR:8, barrierMfmaIndex:279, LocalWritePerMfma:0.100 */
/*  mfmaIndex:72  */
_ds_load_b64 v[vgprValuA_X0_I0+0:vgprValuA_X0_I0+0+1], v[vgprLocalReadAddrA] offset:64 // L -> Reg lro=8 swapByteOffset=0 ti=16 vIdx=0 rIdx=0 oIdx=0 buffer=0 iui=0
_ds_load_b64 v[vgprValuB_X0_I0+0:vgprValuB_X0_I0+0+1], v[vgprLocalReadAddrB] offset:64 // L -> Reg lro=8 swapByteOffset=0 ti=64 vIdx=0 rIdx=0 oIdx=0 buffer=0 iui=0
s_waitcnt lgkmcnt(2)                               // lgkmcnt=0 vmcnt=-1wait for prior local read local write old=0, new=2 newLW=0 newLR=2
v_add_f32 v85, -v[vgprValuA_X1_I0+0+0+0+1], 0      // Ai=-Ai
v_mfma_f32_16x16x4_f32 a[0+0:3+0], v[vgprValuB_X1_I0+0+0+0], v[vgprValuA_X1_I0+0+0+0], a[0:3]
 // Cr += Ar*Br
/*  mfmaIndex:73  */
_ds_load_b64 v[vgprValuA_X0_I0+2:vgprValuA_X0_I0+2+1], v[vgprLocalReadAddrA] offset:2240 // L -> Reg lro=8 swapByteOffset=0 ti=16 vIdx=1 rIdx=0 oIdx=0 buffer=0 iui=0
_ds_load_b64 v[vgprValuA_X0_I0+4:vgprValuA_X0_I0+4+1], v[vgprLocalReadAddrA] offset:4416 // L -> Reg lro=8 swapByteOffset=0 ti=16 vIdx=2 rIdx=0 oIdx=0 buffer=0 iui=0
v_mfma_f32_16x16x4_f32 a[72+0:75+0], v[vgprValuB_X1_I0+0+0+0], v[vgprValuA_X1_I0+0+0+0+1], a[72:75]
 // Ci += Ai*Br
/*  mfmaIndex:74  */
_ds_load_b64 v[vgprValuA_X0_I0+6:vgprValuA_X0_I0+6+1], v[vgprLocalReadAddrA] offset:6592 // L -> Reg lro=8 swapByteOffset=0 ti=16 vIdx=3 rIdx=0 oIdx=0 buffer=0 iui=0
_ds_load_b64 v[vgprValuA_X0_I0+8:vgprValuA_X0_I0+8+1], v[vgprLocalReadAddrA] offset:8768 // L -> Reg lro=8 swapByteOffset=0 ti=16 vIdx=4 rIdx=0 oIdx=0 buffer=0 iui=0
v_mfma_f32_16x16x4_f32 a[0+0:3+0], v[vgprValuB_X1_I0+0+0+0+1], v85, a[0:3]
 // Cr += -Ai*Bi
/*  mfmaIndex:75  */
_ds_load_b64 v[vgprValuA_X0_I0+10:vgprValuA_X0_I0+10+1], v[vgprLocalReadAddrA] offset:10944 // L -> Reg lro=8 swapByteOffset=0 ti=16 vIdx=5 rIdx=0 oIdx=0 buffer=0 iui=0
_ds_load_b64 v[vgprValuA_X0_I0+12:vgprValuA_X0_I0+12+1], v[vgprLocalReadAddrA] offset:13120 // L -> Reg lro=8 swapByteOffset=0 ti=16 vIdx=6 rIdx=0 oIdx=0 buffer=0 iui=0
v_mfma_f32_16x16x4_f32 a[72+0:75+0], v[vgprValuB_X1_I0+0+0+0+1], v[vgprValuA_X1_I0+0+0+0], a[72:75]
 // Ci += Ar*Bi
/*  mfmaIndex:76  */
_ds_load_b64 v[vgprValuA_X0_I0+14:vgprValuA_X0_I0+14+1], v[vgprLocalReadAddrA] offset:15296 // L -> Reg lro=8 swapByteOffset=0 ti=16 vIdx=7 rIdx=0 oIdx=0 buffer=0 iui=0
_ds_load_b64 v[vgprValuA_X0_I0+16:vgprValuA_X0_I0+16+1], v[vgprLocalReadAddrA] offset:17472 // L -> Reg lro=8 swapByteOffset=0 ti=16 vIdx=8 rIdx=0 oIdx=0 buffer=0 iui=0
v_mfma_f32_16x16x4_f32 a[36+0:39+0], v[vgprValuB_X1_I0+2+0+0], v[vgprValuA_X1_I0+0+0+0], a[36:39]
 // Cr += Ar*Br
/*  mfmaIndex:77  */
_ds_load_b64 v[vgprValuB_X0_I0+2:vgprValuB_X0_I0+2+1], v[vgprLocalReadAddrB] offset:9280 // L -> Reg lro=8 swapByteOffset=0 ti=64 vIdx=1 rIdx=0 oIdx=0 buffer=0 iui=0
/* localReadsVacancy: latencyLeft 3 */
v_mfma_f32_16x16x4_f32 a[108+0:111+0], v[vgprValuB_X1_I0+2+0+0], v[vgprValuA_X1_I0+0+0+0+1], a[108:111]
 // Ci += Ai*Br
/*  mfmaIndex:78  */
/* localReadsVacancy: latencyLeft 5 */
v_mfma_f32_16x16x4_f32 a[36+0:39+0], v[vgprValuB_X1_I0+2+0+0+1], v85, a[36:39]
 // Cr += -Ai*Bi
/*  mfmaIndex:79  */
/* localReadsVacancy: latencyLeft 5 */
v_mfma_f32_16x16x4_f32 a[108+0:111+0], v[vgprValuB_X1_I0+2+0+0+1], v[vgprValuA_X1_I0+0+0+0], a[108:111]
 // Ci += Ar*Bi
/*  mfmaIndex:80  */
/* localReadsVacancy: latencyLeft 5 */
v_add_f32 v85, -v[vgprValuA_X1_I0+2+0+0+1], 0      // Ai=-Ai
v_mfma_f32_16x16x4_f32 a[4+0:7+0], v[vgprValuB_X1_I0+0+0+0], v[vgprValuA_X1_I0+2+0+0], a[4:7]
 // Cr += Ar*Br
/*  mfmaIndex:81  */
/* localReadsVacancy: latencyLeft 5 */
v_mfma_f32_16x16x4_f32 a[76+0:79+0], v[vgprValuB_X1_I0+0+0+0], v[vgprValuA_X1_I0+2+0+0+1], a[76:79]
 // Ci += Ai*Br
/*  mfmaIndex:82  */
/* localReadsVacancy: latencyLeft 5 */
v_mfma_f32_16x16x4_f32 a[4+0:7+0], v[vgprValuB_X1_I0+0+0+0+1], v85, a[4:7]
 // Cr += -Ai*Bi
/*  mfmaIndex:83  */
/* localReadsVacancy: latencyLeft 5 */
v_mfma_f32_16x16x4_f32 a[76+0:79+0], v[vgprValuB_X1_I0+0+0+0+1], v[vgprValuA_X1_I0+2+0+0], a[76:79]
 // Ci += Ar*Bi
/*  mfmaIndex:84  */
/* localReadsVacancy: latencyLeft 5 */
v_mfma_f32_16x16x4_f32 a[40+0:43+0], v[vgprValuB_X1_I0+2+0+0], v[vgprValuA_X1_I0+2+0+0], a[40:43]
 // Cr += Ar*Br
/*  mfmaIndex:85  */
/* localReadsVacancy: latencyLeft 5 */
v_mfma_f32_16x16x4_f32 a[112+0:115+0], v[vgprValuB_X1_I0+2+0+0], v[vgprValuA_X1_I0+2+0+0+1], a[112:115]
 // Ci += Ai*Br
/*  mfmaIndex:86  */
/* localReadsVacancy: latencyLeft 5 */
v_mfma_f32_16x16x4_f32 a[40+0:43+0], v[vgprValuB_X1_I0+2+0+0+1], v85, a[40:43]
 // Cr += -Ai*Bi
/*  mfmaIndex:87  */
/* localReadsVacancy: latencyLeft 5 */
v_mfma_f32_16x16x4_f32 a[112+0:115+0], v[vgprValuB_X1_I0+2+0+0+1], v[vgprValuA_X1_I0+2+0+0], a[112:115]
 // Ci += Ar*Bi
/*  mfmaIndex:88  */
/* localReadsVacancy: latencyLeft 5 */
v_add_f32 v85, -v[vgprValuA_X1_I0+4+0+0+1], 0      // Ai=-Ai
v_mfma_f32_16x16x4_f32 a[8+0:11+0], v[vgprValuB_X1_I0+0+0+0], v[vgprValuA_X1_I0+4+0+0], a[8:11]
 // Cr += Ar*Br
/*  mfmaIndex:89  */
/* localReadsVacancy: latencyLeft 5 */
v_mfma_f32_16x16x4_f32 a[80+0:83+0], v[vgprValuB_X1_I0+0+0+0], v[vgprValuA_X1_I0+4+0+0+1], a[80:83]
 // Ci += Ai*Br
/*  mfmaIndex:90  */
/* localReadsVacancy: latencyLeft 5 */
v_mfma_f32_16x16x4_f32 a[8+0:11+0], v[vgprValuB_X1_I0+0+0+0+1], v85, a[8:11]
 // Cr += -Ai*Bi
/*  mfmaIndex:91  */
/* localReadsVacancy: latencyLeft 5 */
v_mfma_f32_16x16x4_f32 a[80+0:83+0], v[vgprValuB_X1_I0+0+0+0+1], v[vgprValuA_X1_I0+4+0+0], a[80:83]
 // Ci += Ar*Bi
/*  mfmaIndex:92  */
/* localReadsVacancy: latencyLeft 5 */
v_mfma_f32_16x16x4_f32 a[44+0:47+0], v[vgprValuB_X1_I0+2+0+0], v[vgprValuA_X1_I0+4+0+0], a[44:47]
 // Cr += Ar*Br
/*  mfmaIndex:93  */
	;; [unrolled: 33-line block ×4, first 2 shown]
/* localReadsVacancy: latencyLeft 5 */
v_mfma_f32_16x16x4_f32 a[124+0:127+0], v[vgprValuB_X1_I0+2+0+0], v[vgprValuA_X1_I0+8+0+0+1], a[124:127]
 // Ci += Ai*Br
/*  mfmaIndex:110  */
/* localReadsVacancy: latencyLeft 5 */
v_mfma_f32_16x16x4_f32 a[52+0:55+0], v[vgprValuB_X1_I0+2+0+0+1], v85, a[52:55]
 // Cr += -Ai*Bi
/*  mfmaIndex:111  */
/* localReadsVacancy: latencyLeft 5 */
v_mfma_f32_16x16x4_f32 a[124+0:127+0], v[vgprValuB_X1_I0+2+0+0+1], v[vgprValuA_X1_I0+8+0+0], a[124:127]
 // Ci += Ar*Bi
/*  mfmaIndex:112  */
/* localReadsVacancy: latencyLeft 5 */
v_add_f32 v85, -v[vgprValuA_X1_I0+10+0+0+1], 0     // Ai=-Ai
v_mfma_f32_16x16x4_f32 a[20+0:23+0], v[vgprValuB_X1_I0+0+0+0], v[vgprValuA_X1_I0+10+0+0], a[20:23]
 // Cr += Ar*Br
/*  mfmaIndex:113  */
/* localReadsVacancy: latencyLeft 5 */
v_mfma_f32_16x16x4_f32 a[92+0:95+0], v[vgprValuB_X1_I0+0+0+0], v[vgprValuA_X1_I0+10+0+0+1], a[92:95]
 // Ci += Ai*Br
/*  mfmaIndex:114  */
/* localReadsVacancy: latencyLeft 5 */
v_mfma_f32_16x16x4_f32 a[20+0:23+0], v[vgprValuB_X1_I0+0+0+0+1], v85, a[20:23]
 // Cr += -Ai*Bi
/*  mfmaIndex:115  */
/* localReadsVacancy: latencyLeft 5 */
v_mfma_f32_16x16x4_f32 a[92+0:95+0], v[vgprValuB_X1_I0+0+0+0+1], v[vgprValuA_X1_I0+10+0+0], a[92:95]
 // Ci += Ar*Bi
/*  mfmaIndex:116  */
/* localReadsVacancy: latencyLeft 5 */
v_mfma_f32_16x16x4_f32 a[56+0:59+0], v[vgprValuB_X1_I0+2+0+0], v[vgprValuA_X1_I0+10+0+0], a[56:59]
 // Cr += Ar*Br
/*  mfmaIndex:117  */
/* localReadsVacancy: latencyLeft 5 */
v_mfma_f32_16x16x4_f32 a[128+0:131+0], v[vgprValuB_X1_I0+2+0+0], v[vgprValuA_X1_I0+10+0+0+1], a[128:131]
 // Ci += Ai*Br
/*  mfmaIndex:118  */
/* localReadsVacancy: latencyLeft 5 */
v_mfma_f32_16x16x4_f32 a[56+0:59+0], v[vgprValuB_X1_I0+2+0+0+1], v85, a[56:59]
 // Cr += -Ai*Bi
/*  mfmaIndex:119  */
/* localReadsVacancy: latencyLeft 5 */
v_mfma_f32_16x16x4_f32 a[128+0:131+0], v[vgprValuB_X1_I0+2+0+0+1], v[vgprValuA_X1_I0+10+0+0], a[128:131]
 // Ci += Ar*Bi
/*  mfmaIndex:120  */
/* localReadsVacancy: latencyLeft 5 */
v_add_f32 v85, -v[vgprValuA_X1_I0+12+0+0+1], 0     // Ai=-Ai
v_mfma_f32_16x16x4_f32 a[24+0:27+0], v[vgprValuB_X1_I0+0+0+0], v[vgprValuA_X1_I0+12+0+0], a[24:27]
 // Cr += Ar*Br
/*  mfmaIndex:121  */
/* localReadsVacancy: latencyLeft 5 */
v_mfma_f32_16x16x4_f32 a[96+0:99+0], v[vgprValuB_X1_I0+0+0+0], v[vgprValuA_X1_I0+12+0+0+1], a[96:99]
 // Ci += Ai*Br
/*  mfmaIndex:122  */
/* localReadsVacancy: latencyLeft 5 */
v_mfma_f32_16x16x4_f32 a[24+0:27+0], v[vgprValuB_X1_I0+0+0+0+1], v85, a[24:27]
 // Cr += -Ai*Bi
/*  mfmaIndex:123  */
/* localReadsVacancy: latencyLeft 5 */
v_mfma_f32_16x16x4_f32 a[96+0:99+0], v[vgprValuB_X1_I0+0+0+0+1], v[vgprValuA_X1_I0+12+0+0], a[96:99]
 // Ci += Ar*Bi
/*  mfmaIndex:124  */
/* localReadsVacancy: latencyLeft 5 */
v_mfma_f32_16x16x4_f32 a[60+0:63+0], v[vgprValuB_X1_I0+2+0+0], v[vgprValuA_X1_I0+12+0+0], a[60:63]
 // Cr += Ar*Br
/*  mfmaIndex:125  */
	;; [unrolled: 33-line block ×4, first 2 shown]
/* localReadsVacancy: latencyLeft 5 */
v_mfma_f32_16x16x4_f32 a[140+0:143+0], v[vgprValuB_X1_I0+2+0+0], v[vgprValuA_X1_I0+16+0+0+1], a[140:143]
 // Ci += Ai*Br
/*  mfmaIndex:142  */
/* localReadsVacancy: latencyLeft 5 */
v_mfma_f32_16x16x4_f32 a[68+0:71+0], v[vgprValuB_X1_I0+2+0+0+1], v85, a[68:71]
 // Cr += -Ai*Bi
/*  mfmaIndex:143  */
/* localReadsVacancy: latencyLeft 5 */
v_mfma_f32_16x16x4_f32 a[140+0:143+0], v[vgprValuB_X1_I0+2+0+0+1], v[vgprValuA_X1_I0+16+0+0], a[140:143]
 // Ci += Ar*Bi
/* numPrefetchIter=0 */
/* dataAtIterA=0 numReadsIterA=2 skipReadsIterA=1 readsPerIterA=9 */
/* dataAtIterB=0 numReadsIterB=2 skipReadsIterB=1 readsPerIterB=2 */


/* iter 2 (reset local read pointers iteration)  (swap local read pointers iteration)  */

/*  grEndMfmaIndex:6, lwStartMfmaIndex:156, lwEndMfmaIndex:277  */
/*  numMfmaForLR:8, barrierMfmaIndex:279, LocalWritePerMfma:0.100 */
/*  mfmaIndex:144  */
_ds_load_b64 v[vgprValuA_X1_I0+0:vgprValuA_X1_I0+0+1], v[vgprLocalReadAddrA] offset:96 // L -> Reg lro=12 swapByteOffset=0 ti=16 vIdx=0 rIdx=0 oIdx=0 buffer=1 iui=0
_ds_load_b64 v[vgprValuB_X1_I0+0:vgprValuB_X1_I0+0+1], v[vgprLocalReadAddrB] offset:96 // L -> Reg lro=12 swapByteOffset=0 ti=64 vIdx=0 rIdx=0 oIdx=0 buffer=1 iui=0
s_waitcnt lgkmcnt(2)                               // lgkmcnt=0 vmcnt=-1wait for prior local read local write old=0, new=2 newLW=0 newLR=2
v_add_f32 v85, -v[vgprValuA_X0_I0+0+0+0+1], 0      // Ai=-Ai
v_mfma_f32_16x16x4_f32 a[0+0:3+0], v[vgprValuB_X0_I0+0+0+0], v[vgprValuA_X0_I0+0+0+0], a[0:3]
 // Cr += Ar*Br
/*  mfmaIndex:145  */
_ds_load_b64 v[vgprValuA_X1_I0+2:vgprValuA_X1_I0+2+1], v[vgprLocalReadAddrA] offset:2272 // L -> Reg lro=12 swapByteOffset=0 ti=16 vIdx=1 rIdx=0 oIdx=0 buffer=1 iui=0
_ds_load_b64 v[vgprValuA_X1_I0+4:vgprValuA_X1_I0+4+1], v[vgprLocalReadAddrA] offset:4448 // L -> Reg lro=12 swapByteOffset=0 ti=16 vIdx=2 rIdx=0 oIdx=0 buffer=1 iui=0
v_mfma_f32_16x16x4_f32 a[72+0:75+0], v[vgprValuB_X0_I0+0+0+0], v[vgprValuA_X0_I0+0+0+0+1], a[72:75]
 // Ci += Ai*Br
/*  mfmaIndex:146  */
_ds_load_b64 v[vgprValuA_X1_I0+6:vgprValuA_X1_I0+6+1], v[vgprLocalReadAddrA] offset:6624 // L -> Reg lro=12 swapByteOffset=0 ti=16 vIdx=3 rIdx=0 oIdx=0 buffer=1 iui=0
_ds_load_b64 v[vgprValuA_X1_I0+8:vgprValuA_X1_I0+8+1], v[vgprLocalReadAddrA] offset:8800 // L -> Reg lro=12 swapByteOffset=0 ti=16 vIdx=4 rIdx=0 oIdx=0 buffer=1 iui=0
v_mfma_f32_16x16x4_f32 a[0+0:3+0], v[vgprValuB_X0_I0+0+0+0+1], v85, a[0:3]
 // Cr += -Ai*Bi
/*  mfmaIndex:147  */
_ds_load_b64 v[vgprValuA_X1_I0+10:vgprValuA_X1_I0+10+1], v[vgprLocalReadAddrA] offset:10976 // L -> Reg lro=12 swapByteOffset=0 ti=16 vIdx=5 rIdx=0 oIdx=0 buffer=1 iui=0
_ds_load_b64 v[vgprValuA_X1_I0+12:vgprValuA_X1_I0+12+1], v[vgprLocalReadAddrA] offset:13152 // L -> Reg lro=12 swapByteOffset=0 ti=16 vIdx=6 rIdx=0 oIdx=0 buffer=1 iui=0
v_mfma_f32_16x16x4_f32 a[72+0:75+0], v[vgprValuB_X0_I0+0+0+0+1], v[vgprValuA_X0_I0+0+0+0], a[72:75]
 // Ci += Ar*Bi
/*  mfmaIndex:148  */
_ds_load_b64 v[vgprValuA_X1_I0+14:vgprValuA_X1_I0+14+1], v[vgprLocalReadAddrA] offset:15328 // L -> Reg lro=12 swapByteOffset=0 ti=16 vIdx=7 rIdx=0 oIdx=0 buffer=1 iui=0
_ds_load_b64 v[vgprValuA_X1_I0+16:vgprValuA_X1_I0+16+1], v[vgprLocalReadAddrA] offset:17504 // L -> Reg lro=12 swapByteOffset=0 ti=16 vIdx=8 rIdx=0 oIdx=0 buffer=1 iui=0
v_mfma_f32_16x16x4_f32 a[36+0:39+0], v[vgprValuB_X0_I0+2+0+0], v[vgprValuA_X0_I0+0+0+0], a[36:39]
 // Cr += Ar*Br
/*  mfmaIndex:149  */
_ds_load_b64 v[vgprValuB_X1_I0+2:vgprValuB_X1_I0+2+1], v[vgprLocalReadAddrB] offset:9312 // L -> Reg lro=12 swapByteOffset=0 ti=64 vIdx=1 rIdx=0 oIdx=0 buffer=1 iui=0
/* localReadsVacancy: latencyLeft 3 */
v_mfma_f32_16x16x4_f32 a[108+0:111+0], v[vgprValuB_X0_I0+2+0+0], v[vgprValuA_X0_I0+0+0+0+1], a[108:111]
 // Ci += Ai*Br
/*  mfmaIndex:150  */
/* localReadsVacancy: latencyLeft 5 */
v_mfma_f32_16x16x4_f32 a[36+0:39+0], v[vgprValuB_X0_I0+2+0+0+1], v85, a[36:39]
 // Cr += -Ai*Bi
/*  mfmaIndex:151  */
/* localReadsVacancy: latencyLeft 5 */
v_mfma_f32_16x16x4_f32 a[108+0:111+0], v[vgprValuB_X0_I0+2+0+0+1], v[vgprValuA_X0_I0+0+0+0], a[108:111]
 // Ci += Ar*Bi
/*  mfmaIndex:152  */
/* localReadsVacancy: latencyLeft 5 */
v_add_f32 v85, -v[vgprValuA_X0_I0+2+0+0+1], 0      // Ai=-Ai
v_mfma_f32_16x16x4_f32 a[4+0:7+0], v[vgprValuB_X0_I0+0+0+0], v[vgprValuA_X0_I0+2+0+0], a[4:7]
 // Cr += Ar*Br
/*  mfmaIndex:153  */
/* localReadsVacancy: latencyLeft 5 */
v_mfma_f32_16x16x4_f32 a[76+0:79+0], v[vgprValuB_X0_I0+0+0+0], v[vgprValuA_X0_I0+2+0+0+1], a[76:79]
 // Ci += Ai*Br
/*  mfmaIndex:154  */
/* localReadsVacancy: latencyLeft 5 */
v_mfma_f32_16x16x4_f32 a[4+0:7+0], v[vgprValuB_X0_I0+0+0+0+1], v85, a[4:7]
 // Cr += -Ai*Bi
/*  mfmaIndex:155  */
/* localReadsVacancy: latencyLeft 5 */
/* 1 LDS buffer: read-sync-write */
s_waitcnt lgkmcnt(0)                               // 
s_barrier                                          // 
v_mfma_f32_16x16x4_f32 a[76+0:79+0], v[vgprValuB_X0_I0+0+0+0+1], v[vgprValuA_X0_I0+2+0+0], a[76:79]
 // Ci += Ar*Bi
/*  mfmaIndex:156  */
s_setprio 3                                        // store optimization
/* sched write - iter 2 writesPerItem=1 */
s_waitcnt vmcnt(0)                                 // lgkmcnt=-1 vmcnt=0wait for global read before writing to local
_ds_store_b64 v[vgprLocalWriteAddrA], v[vgprG2LA+0:vgprG2LA+0+1] offset:0 // lwoA_0_0_0_0 = (0*LSCA)*(MT0I+PAD) + (0*LSPA) = 0
v_mfma_f32_16x16x4_f32 a[40+0:43+0], v[vgprValuB_X0_I0+2+0+0], v[vgprValuA_X0_I0+2+0+0], a[40:43]
 // Cr += Ar*Br
/*  mfmaIndex:157  */
v_mfma_f32_16x16x4_f32 a[112+0:115+0], v[vgprValuB_X0_I0+2+0+0], v[vgprValuA_X0_I0+2+0+0+1], a[112:115]
 // Ci += Ai*Br
/*  mfmaIndex:158  */
v_mfma_f32_16x16x4_f32 a[40+0:43+0], v[vgprValuB_X0_I0+2+0+0+1], v85, a[40:43]
 // Cr += -Ai*Bi
/*  mfmaIndex:159  */
v_mfma_f32_16x16x4_f32 a[112+0:115+0], v[vgprValuB_X0_I0+2+0+0+1], v[vgprValuA_X0_I0+2+0+0], a[112:115]
 // Ci += Ar*Bi
/*  mfmaIndex:160  */
v_add_f32 v85, -v[vgprValuA_X0_I0+4+0+0+1], 0      // Ai=-Ai
v_mfma_f32_16x16x4_f32 a[8+0:11+0], v[vgprValuB_X0_I0+0+0+0], v[vgprValuA_X0_I0+4+0+0], a[8:11]
 // Cr += Ar*Br
/*  mfmaIndex:161  */
v_mfma_f32_16x16x4_f32 a[80+0:83+0], v[vgprValuB_X0_I0+0+0+0], v[vgprValuA_X0_I0+4+0+0+1], a[80:83]
 // Ci += Ai*Br
/*  mfmaIndex:162  */
v_mfma_f32_16x16x4_f32 a[8+0:11+0], v[vgprValuB_X0_I0+0+0+0+1], v85, a[8:11]
 // Cr += -Ai*Bi
/*  mfmaIndex:163  */
v_mfma_f32_16x16x4_f32 a[80+0:83+0], v[vgprValuB_X0_I0+0+0+0+1], v[vgprValuA_X0_I0+4+0+0], a[80:83]
 // Ci += Ar*Bi
/*  mfmaIndex:164  */
v_mfma_f32_16x16x4_f32 a[44+0:47+0], v[vgprValuB_X0_I0+2+0+0], v[vgprValuA_X0_I0+4+0+0], a[44:47]
 // Cr += Ar*Br
/*  mfmaIndex:165  */
v_mfma_f32_16x16x4_f32 a[116+0:119+0], v[vgprValuB_X0_I0+2+0+0], v[vgprValuA_X0_I0+4+0+0+1], a[116:119]
 // Ci += Ai*Br
/*  mfmaIndex:166  */
/* sched write - iter 2 writesPerItem=1 */
s_waitcnt vmcnt(0)                                 // lgkmcnt=-1 vmcnt=0wait for global read before writing to local
_ds_store_b64 v[vgprLocalWriteAddrA], v[vgprG2LA+2:vgprG2LA+2+1] offset:2176 // lwoA_0_0_1_0 = (0*LSCA)*(MT0I+PAD) + (1*LSPA) = 2176
v_mfma_f32_16x16x4_f32 a[44+0:47+0], v[vgprValuB_X0_I0+2+0+0+1], v85, a[44:47]
 // Cr += -Ai*Bi
/*  mfmaIndex:167  */
v_mfma_f32_16x16x4_f32 a[116+0:119+0], v[vgprValuB_X0_I0+2+0+0+1], v[vgprValuA_X0_I0+4+0+0], a[116:119]
 // Ci += Ar*Bi
/*  mfmaIndex:168  */
v_add_f32 v85, -v[vgprValuA_X0_I0+6+0+0+1], 0      // Ai=-Ai
v_mfma_f32_16x16x4_f32 a[12+0:15+0], v[vgprValuB_X0_I0+0+0+0], v[vgprValuA_X0_I0+6+0+0], a[12:15]
 // Cr += Ar*Br
/*  mfmaIndex:169  */
v_mfma_f32_16x16x4_f32 a[84+0:87+0], v[vgprValuB_X0_I0+0+0+0], v[vgprValuA_X0_I0+6+0+0+1], a[84:87]
 // Ci += Ai*Br
/*  mfmaIndex:170  */
v_mfma_f32_16x16x4_f32 a[12+0:15+0], v[vgprValuB_X0_I0+0+0+0+1], v85, a[12:15]
 // Cr += -Ai*Bi
/*  mfmaIndex:171  */
v_mfma_f32_16x16x4_f32 a[84+0:87+0], v[vgprValuB_X0_I0+0+0+0+1], v[vgprValuA_X0_I0+6+0+0], a[84:87]
 // Ci += Ar*Bi
/*  mfmaIndex:172  */
v_mfma_f32_16x16x4_f32 a[48+0:51+0], v[vgprValuB_X0_I0+2+0+0], v[vgprValuA_X0_I0+6+0+0], a[48:51]
 // Cr += Ar*Br
/*  mfmaIndex:173  */
v_mfma_f32_16x16x4_f32 a[120+0:123+0], v[vgprValuB_X0_I0+2+0+0], v[vgprValuA_X0_I0+6+0+0+1], a[120:123]
 // Ci += Ai*Br
/*  mfmaIndex:174  */
v_mfma_f32_16x16x4_f32 a[48+0:51+0], v[vgprValuB_X0_I0+2+0+0+1], v85, a[48:51]
 // Cr += -Ai*Bi
/*  mfmaIndex:175  */
v_mfma_f32_16x16x4_f32 a[120+0:123+0], v[vgprValuB_X0_I0+2+0+0+1], v[vgprValuA_X0_I0+6+0+0], a[120:123]
 // Ci += Ar*Bi
/*  mfmaIndex:176  */
/* sched write - iter 2 writesPerItem=1 */
s_waitcnt vmcnt(0)                                 // lgkmcnt=-1 vmcnt=0wait for global read before writing to local
_ds_store_b64 v[vgprLocalWriteAddrA], v[vgprG2LA+4:vgprG2LA+4+1] offset:4352 // lwoA_0_0_2_0 = (0*LSCA)*(MT0I+PAD) + (2*LSPA) = 4352
v_add_f32 v85, -v[vgprValuA_X0_I0+8+0+0+1], 0      // Ai=-Ai
v_mfma_f32_16x16x4_f32 a[16+0:19+0], v[vgprValuB_X0_I0+0+0+0], v[vgprValuA_X0_I0+8+0+0], a[16:19]
 // Cr += Ar*Br
/*  mfmaIndex:177  */
v_mfma_f32_16x16x4_f32 a[88+0:91+0], v[vgprValuB_X0_I0+0+0+0], v[vgprValuA_X0_I0+8+0+0+1], a[88:91]
 // Ci += Ai*Br
/*  mfmaIndex:178  */
v_mfma_f32_16x16x4_f32 a[16+0:19+0], v[vgprValuB_X0_I0+0+0+0+1], v85, a[16:19]
 // Cr += -Ai*Bi
/*  mfmaIndex:179  */
v_mfma_f32_16x16x4_f32 a[88+0:91+0], v[vgprValuB_X0_I0+0+0+0+1], v[vgprValuA_X0_I0+8+0+0], a[88:91]
 // Ci += Ar*Bi
/*  mfmaIndex:180  */
v_mfma_f32_16x16x4_f32 a[52+0:55+0], v[vgprValuB_X0_I0+2+0+0], v[vgprValuA_X0_I0+8+0+0], a[52:55]
 // Cr += Ar*Br
/*  mfmaIndex:181  */
v_mfma_f32_16x16x4_f32 a[124+0:127+0], v[vgprValuB_X0_I0+2+0+0], v[vgprValuA_X0_I0+8+0+0+1], a[124:127]
 // Ci += Ai*Br
/*  mfmaIndex:182  */
v_mfma_f32_16x16x4_f32 a[52+0:55+0], v[vgprValuB_X0_I0+2+0+0+1], v85, a[52:55]
 // Cr += -Ai*Bi
/*  mfmaIndex:183  */
v_mfma_f32_16x16x4_f32 a[124+0:127+0], v[vgprValuB_X0_I0+2+0+0+1], v[vgprValuA_X0_I0+8+0+0], a[124:127]
 // Ci += Ar*Bi
/*  mfmaIndex:184  */
v_add_f32 v85, -v[vgprValuA_X0_I0+10+0+0+1], 0     // Ai=-Ai
v_mfma_f32_16x16x4_f32 a[20+0:23+0], v[vgprValuB_X0_I0+0+0+0], v[vgprValuA_X0_I0+10+0+0], a[20:23]
 // Cr += Ar*Br
/*  mfmaIndex:185  */
v_mfma_f32_16x16x4_f32 a[92+0:95+0], v[vgprValuB_X0_I0+0+0+0], v[vgprValuA_X0_I0+10+0+0+1], a[92:95]
 // Ci += Ai*Br
/*  mfmaIndex:186  */
/* sched write - iter 2 writesPerItem=1 */
s_waitcnt vmcnt(0)                                 // lgkmcnt=-1 vmcnt=0wait for global read before writing to local
_ds_store_b64 v[vgprLocalWriteAddrA], v[vgprG2LA+6:vgprG2LA+6+1] offset:6528 // lwoA_0_0_3_0 = (0*LSCA)*(MT0I+PAD) + (3*LSPA) = 6528
v_mfma_f32_16x16x4_f32 a[20+0:23+0], v[vgprValuB_X0_I0+0+0+0+1], v85, a[20:23]
 // Cr += -Ai*Bi
/*  mfmaIndex:187  */
v_mfma_f32_16x16x4_f32 a[92+0:95+0], v[vgprValuB_X0_I0+0+0+0+1], v[vgprValuA_X0_I0+10+0+0], a[92:95]
 // Ci += Ar*Bi
/*  mfmaIndex:188  */
v_mfma_f32_16x16x4_f32 a[56+0:59+0], v[vgprValuB_X0_I0+2+0+0], v[vgprValuA_X0_I0+10+0+0], a[56:59]
 // Cr += Ar*Br
/*  mfmaIndex:189  */
v_mfma_f32_16x16x4_f32 a[128+0:131+0], v[vgprValuB_X0_I0+2+0+0], v[vgprValuA_X0_I0+10+0+0+1], a[128:131]
 // Ci += Ai*Br
/*  mfmaIndex:190  */
v_mfma_f32_16x16x4_f32 a[56+0:59+0], v[vgprValuB_X0_I0+2+0+0+1], v85, a[56:59]
 // Cr += -Ai*Bi
/*  mfmaIndex:191  */
v_mfma_f32_16x16x4_f32 a[128+0:131+0], v[vgprValuB_X0_I0+2+0+0+1], v[vgprValuA_X0_I0+10+0+0], a[128:131]
 // Ci += Ar*Bi
/*  mfmaIndex:192  */
v_add_f32 v85, -v[vgprValuA_X0_I0+12+0+0+1], 0     // Ai=-Ai
v_mfma_f32_16x16x4_f32 a[24+0:27+0], v[vgprValuB_X0_I0+0+0+0], v[vgprValuA_X0_I0+12+0+0], a[24:27]
 // Cr += Ar*Br
/*  mfmaIndex:193  */
v_mfma_f32_16x16x4_f32 a[96+0:99+0], v[vgprValuB_X0_I0+0+0+0], v[vgprValuA_X0_I0+12+0+0+1], a[96:99]
 // Ci += Ai*Br
/*  mfmaIndex:194  */
v_mfma_f32_16x16x4_f32 a[24+0:27+0], v[vgprValuB_X0_I0+0+0+0+1], v85, a[24:27]
 // Cr += -Ai*Bi
/*  mfmaIndex:195  */
v_mfma_f32_16x16x4_f32 a[96+0:99+0], v[vgprValuB_X0_I0+0+0+0+1], v[vgprValuA_X0_I0+12+0+0], a[96:99]
 // Ci += Ar*Bi
/*  mfmaIndex:196  */
/* sched write - iter 2 writesPerItem=1 */
s_waitcnt vmcnt(0)                                 // lgkmcnt=-1 vmcnt=0wait for global read before writing to local
_ds_store_b64 v[vgprLocalWriteAddrA], v[vgprG2LA+8:vgprG2LA+8+1] offset:8704 // lwoA_0_0_4_0 = (0*LSCA)*(MT0I+PAD) + (4*LSPA) = 8704
v_mfma_f32_16x16x4_f32 a[60+0:63+0], v[vgprValuB_X0_I0+2+0+0], v[vgprValuA_X0_I0+12+0+0], a[60:63]
 // Cr += Ar*Br
/*  mfmaIndex:197  */
v_mfma_f32_16x16x4_f32 a[132+0:135+0], v[vgprValuB_X0_I0+2+0+0], v[vgprValuA_X0_I0+12+0+0+1], a[132:135]
 // Ci += Ai*Br
/*  mfmaIndex:198  */
v_mfma_f32_16x16x4_f32 a[60+0:63+0], v[vgprValuB_X0_I0+2+0+0+1], v85, a[60:63]
 // Cr += -Ai*Bi
/*  mfmaIndex:199  */
v_mfma_f32_16x16x4_f32 a[132+0:135+0], v[vgprValuB_X0_I0+2+0+0+1], v[vgprValuA_X0_I0+12+0+0], a[132:135]
 // Ci += Ar*Bi
/*  mfmaIndex:200  */
v_add_f32 v85, -v[vgprValuA_X0_I0+14+0+0+1], 0     // Ai=-Ai
v_mfma_f32_16x16x4_f32 a[28+0:31+0], v[vgprValuB_X0_I0+0+0+0], v[vgprValuA_X0_I0+14+0+0], a[28:31]
 // Cr += Ar*Br
/*  mfmaIndex:201  */
v_mfma_f32_16x16x4_f32 a[100+0:103+0], v[vgprValuB_X0_I0+0+0+0], v[vgprValuA_X0_I0+14+0+0+1], a[100:103]
 // Ci += Ai*Br
/*  mfmaIndex:202  */
v_mfma_f32_16x16x4_f32 a[28+0:31+0], v[vgprValuB_X0_I0+0+0+0+1], v85, a[28:31]
 // Cr += -Ai*Bi
/*  mfmaIndex:203  */
v_mfma_f32_16x16x4_f32 a[100+0:103+0], v[vgprValuB_X0_I0+0+0+0+1], v[vgprValuA_X0_I0+14+0+0], a[100:103]
 // Ci += Ar*Bi
/*  mfmaIndex:204  */
v_mfma_f32_16x16x4_f32 a[64+0:67+0], v[vgprValuB_X0_I0+2+0+0], v[vgprValuA_X0_I0+14+0+0], a[64:67]
 // Cr += Ar*Br
/*  mfmaIndex:205  */
v_mfma_f32_16x16x4_f32 a[136+0:139+0], v[vgprValuB_X0_I0+2+0+0], v[vgprValuA_X0_I0+14+0+0+1], a[136:139]
 // Ci += Ai*Br
/*  mfmaIndex:206  */
/* sched write - iter 2 writesPerItem=1 */
s_waitcnt vmcnt(0)                                 // lgkmcnt=-1 vmcnt=0wait for global read before writing to local
_ds_store_b64 v[vgprLocalWriteAddrA], v[vgprG2LA+10:vgprG2LA+10+1] offset:10880 // lwoA_0_0_5_0 = (0*LSCA)*(MT0I+PAD) + (5*LSPA) = 10880
v_mfma_f32_16x16x4_f32 a[64+0:67+0], v[vgprValuB_X0_I0+2+0+0+1], v85, a[64:67]
 // Cr += -Ai*Bi
/*  mfmaIndex:207  */
v_mfma_f32_16x16x4_f32 a[136+0:139+0], v[vgprValuB_X0_I0+2+0+0+1], v[vgprValuA_X0_I0+14+0+0], a[136:139]
 // Ci += Ar*Bi
/*  mfmaIndex:208  */
v_add_f32 v85, -v[vgprValuA_X0_I0+16+0+0+1], 0     // Ai=-Ai
v_mfma_f32_16x16x4_f32 a[32+0:35+0], v[vgprValuB_X0_I0+0+0+0], v[vgprValuA_X0_I0+16+0+0], a[32:35]
 // Cr += Ar*Br
/*  mfmaIndex:209  */
v_mfma_f32_16x16x4_f32 a[104+0:107+0], v[vgprValuB_X0_I0+0+0+0], v[vgprValuA_X0_I0+16+0+0+1], a[104:107]
 // Ci += Ai*Br
/*  mfmaIndex:210  */
v_mfma_f32_16x16x4_f32 a[32+0:35+0], v[vgprValuB_X0_I0+0+0+0+1], v85, a[32:35]
 // Cr += -Ai*Bi
/*  mfmaIndex:211  */
v_mfma_f32_16x16x4_f32 a[104+0:107+0], v[vgprValuB_X0_I0+0+0+0+1], v[vgprValuA_X0_I0+16+0+0], a[104:107]
 // Ci += Ar*Bi
/*  mfmaIndex:212  */
v_mfma_f32_16x16x4_f32 a[68+0:71+0], v[vgprValuB_X0_I0+2+0+0], v[vgprValuA_X0_I0+16+0+0], a[68:71]
 // Cr += Ar*Br
/*  mfmaIndex:213  */
v_mfma_f32_16x16x4_f32 a[140+0:143+0], v[vgprValuB_X0_I0+2+0+0], v[vgprValuA_X0_I0+16+0+0+1], a[140:143]
 // Ci += Ai*Br
/*  mfmaIndex:214  */
v_mfma_f32_16x16x4_f32 a[68+0:71+0], v[vgprValuB_X0_I0+2+0+0+1], v85, a[68:71]
 // Cr += -Ai*Bi
/*  mfmaIndex:215  */

/* local read swap offsets a */

/* local read swap offsets b */

/* local read init pointers a */

/* localReadInitPointers */

/* local read init pointers b */

/* localReadInitPointers */
v_mfma_f32_16x16x4_f32 a[140+0:143+0], v[vgprValuB_X0_I0+2+0+0+1], v[vgprValuA_X0_I0+16+0+0], a[140:143]
 // Ci += Ar*Bi
/* numPrefetchIter=0 */
/* dataAtIterA=1 numReadsIterA=3 skipReadsIterA=1 readsPerIterA=9 */
/* dataAtIterB=1 numReadsIterB=3 skipReadsIterB=1 readsPerIterB=2 */


/* iter 3 (swap and reset local write pointers iteration)  */

/*  grEndMfmaIndex:6, lwStartMfmaIndex:156, lwEndMfmaIndex:277  */
/*  numMfmaForLR:8, barrierMfmaIndex:279, LocalWritePerMfma:0.100 */
/*  mfmaIndex:216  */
/* sched write - iter 3 writesPerItem=1 */
s_waitcnt vmcnt(0)                                 // lgkmcnt=-1 vmcnt=0wait for global read before writing to local
_ds_store_b64 v[vgprLocalWriteAddrA], v[vgprG2LA+12:vgprG2LA+12+1] offset:13056 // lwoA_0_0_6_0 = (0*LSCA)*(MT0I+PAD) + (6*LSPA) = 13056
s_waitcnt lgkmcnt(7)                               // lgkmcnt=0 vmcnt=-1wait for prior local read local write old=0, new=7 newLW=7 newLR=0
v_add_f32 v85, -v[vgprValuA_X1_I0+0+0+0+1], 0      // Ai=-Ai
v_mfma_f32_16x16x4_f32 a[0+0:3+0], v[vgprValuB_X1_I0+0+0+0], v[vgprValuA_X1_I0+0+0+0], a[0:3]
 // Cr += Ar*Br
/*  mfmaIndex:217  */
v_mfma_f32_16x16x4_f32 a[72+0:75+0], v[vgprValuB_X1_I0+0+0+0], v[vgprValuA_X1_I0+0+0+0+1], a[72:75]
 // Ci += Ai*Br
/*  mfmaIndex:218  */
v_mfma_f32_16x16x4_f32 a[0+0:3+0], v[vgprValuB_X1_I0+0+0+0+1], v85, a[0:3]
 // Cr += -Ai*Bi
/*  mfmaIndex:219  */
v_mfma_f32_16x16x4_f32 a[72+0:75+0], v[vgprValuB_X1_I0+0+0+0+1], v[vgprValuA_X1_I0+0+0+0], a[72:75]
 // Ci += Ar*Bi
/*  mfmaIndex:220  */
v_mfma_f32_16x16x4_f32 a[36+0:39+0], v[vgprValuB_X1_I0+2+0+0], v[vgprValuA_X1_I0+0+0+0], a[36:39]
 // Cr += Ar*Br
/*  mfmaIndex:221  */
v_mfma_f32_16x16x4_f32 a[108+0:111+0], v[vgprValuB_X1_I0+2+0+0], v[vgprValuA_X1_I0+0+0+0+1], a[108:111]
 // Ci += Ai*Br
/*  mfmaIndex:222  */
v_mfma_f32_16x16x4_f32 a[36+0:39+0], v[vgprValuB_X1_I0+2+0+0+1], v85, a[36:39]
 // Cr += -Ai*Bi
/*  mfmaIndex:223  */
v_mfma_f32_16x16x4_f32 a[108+0:111+0], v[vgprValuB_X1_I0+2+0+0+1], v[vgprValuA_X1_I0+0+0+0], a[108:111]
 // Ci += Ar*Bi
/*  mfmaIndex:224  */
v_add_f32 v85, -v[vgprValuA_X1_I0+2+0+0+1], 0      // Ai=-Ai
v_mfma_f32_16x16x4_f32 a[4+0:7+0], v[vgprValuB_X1_I0+0+0+0], v[vgprValuA_X1_I0+2+0+0], a[4:7]
 // Cr += Ar*Br
/*  mfmaIndex:225  */
v_mfma_f32_16x16x4_f32 a[76+0:79+0], v[vgprValuB_X1_I0+0+0+0], v[vgprValuA_X1_I0+2+0+0+1], a[76:79]
 // Ci += Ai*Br
/*  mfmaIndex:226  */
/* sched write - iter 3 writesPerItem=1 */
s_waitcnt vmcnt(0)                                 // lgkmcnt=-1 vmcnt=0wait for global read before writing to local
_ds_store_b64 v[vgprLocalWriteAddrA], v[vgprG2LA+14:vgprG2LA+14+1] offset:15232 // lwoA_0_0_7_0 = (0*LSCA)*(MT0I+PAD) + (7*LSPA) = 15232
v_mfma_f32_16x16x4_f32 a[4+0:7+0], v[vgprValuB_X1_I0+0+0+0+1], v85, a[4:7]
 // Cr += -Ai*Bi
/*  mfmaIndex:227  */
v_mfma_f32_16x16x4_f32 a[76+0:79+0], v[vgprValuB_X1_I0+0+0+0+1], v[vgprValuA_X1_I0+2+0+0], a[76:79]
 // Ci += Ar*Bi
/*  mfmaIndex:228  */
v_mfma_f32_16x16x4_f32 a[40+0:43+0], v[vgprValuB_X1_I0+2+0+0], v[vgprValuA_X1_I0+2+0+0], a[40:43]
 // Cr += Ar*Br
/*  mfmaIndex:229  */
v_mfma_f32_16x16x4_f32 a[112+0:115+0], v[vgprValuB_X1_I0+2+0+0], v[vgprValuA_X1_I0+2+0+0+1], a[112:115]
 // Ci += Ai*Br
/*  mfmaIndex:230  */
v_mfma_f32_16x16x4_f32 a[40+0:43+0], v[vgprValuB_X1_I0+2+0+0+1], v85, a[40:43]
 // Cr += -Ai*Bi
/*  mfmaIndex:231  */
v_mfma_f32_16x16x4_f32 a[112+0:115+0], v[vgprValuB_X1_I0+2+0+0+1], v[vgprValuA_X1_I0+2+0+0], a[112:115]
 // Ci += Ar*Bi
/*  mfmaIndex:232  */
v_add_f32 v85, -v[vgprValuA_X1_I0+4+0+0+1], 0      // Ai=-Ai
v_mfma_f32_16x16x4_f32 a[8+0:11+0], v[vgprValuB_X1_I0+0+0+0], v[vgprValuA_X1_I0+4+0+0], a[8:11]
 // Cr += Ar*Br
/*  mfmaIndex:233  */
v_mfma_f32_16x16x4_f32 a[80+0:83+0], v[vgprValuB_X1_I0+0+0+0], v[vgprValuA_X1_I0+4+0+0+1], a[80:83]
 // Ci += Ai*Br
/*  mfmaIndex:234  */
v_mfma_f32_16x16x4_f32 a[8+0:11+0], v[vgprValuB_X1_I0+0+0+0+1], v85, a[8:11]
 // Cr += -Ai*Bi
/*  mfmaIndex:235  */
v_mfma_f32_16x16x4_f32 a[80+0:83+0], v[vgprValuB_X1_I0+0+0+0+1], v[vgprValuA_X1_I0+4+0+0], a[80:83]
 // Ci += Ar*Bi
/*  mfmaIndex:236  */
/* sched write - iter 3 writesPerItem=1 */
s_waitcnt vmcnt(0)                                 // lgkmcnt=-1 vmcnt=0wait for global read before writing to local
_ds_store_b64 v[vgprLocalWriteAddrA], v[vgprG2LA+16:vgprG2LA+16+1] offset:17408 // lwoA_0_0_8_0 = (0*LSCA)*(MT0I+PAD) + (8*LSPA) = 17408
v_mfma_f32_16x16x4_f32 a[44+0:47+0], v[vgprValuB_X1_I0+2+0+0], v[vgprValuA_X1_I0+4+0+0], a[44:47]
 // Cr += Ar*Br
/*  mfmaIndex:237  */
v_mfma_f32_16x16x4_f32 a[116+0:119+0], v[vgprValuB_X1_I0+2+0+0], v[vgprValuA_X1_I0+4+0+0+1], a[116:119]
 // Ci += Ai*Br
/*  mfmaIndex:238  */
v_mfma_f32_16x16x4_f32 a[44+0:47+0], v[vgprValuB_X1_I0+2+0+0+1], v85, a[44:47]
 // Cr += -Ai*Bi
/*  mfmaIndex:239  */
v_mfma_f32_16x16x4_f32 a[116+0:119+0], v[vgprValuB_X1_I0+2+0+0+1], v[vgprValuA_X1_I0+4+0+0], a[116:119]
 // Ci += Ar*Bi
/*  mfmaIndex:240  */
v_add_f32 v85, -v[vgprValuA_X1_I0+6+0+0+1], 0      // Ai=-Ai
v_mfma_f32_16x16x4_f32 a[12+0:15+0], v[vgprValuB_X1_I0+0+0+0], v[vgprValuA_X1_I0+6+0+0], a[12:15]
 // Cr += Ar*Br
/*  mfmaIndex:241  */
v_mfma_f32_16x16x4_f32 a[84+0:87+0], v[vgprValuB_X1_I0+0+0+0], v[vgprValuA_X1_I0+6+0+0+1], a[84:87]
 // Ci += Ai*Br
/*  mfmaIndex:242  */
v_mfma_f32_16x16x4_f32 a[12+0:15+0], v[vgprValuB_X1_I0+0+0+0+1], v85, a[12:15]
 // Cr += -Ai*Bi
/*  mfmaIndex:243  */
v_mfma_f32_16x16x4_f32 a[84+0:87+0], v[vgprValuB_X1_I0+0+0+0+1], v[vgprValuA_X1_I0+6+0+0], a[84:87]
 // Ci += Ar*Bi
/*  mfmaIndex:244  */
v_mfma_f32_16x16x4_f32 a[48+0:51+0], v[vgprValuB_X1_I0+2+0+0], v[vgprValuA_X1_I0+6+0+0], a[48:51]
 // Cr += Ar*Br
/*  mfmaIndex:245  */
v_mfma_f32_16x16x4_f32 a[120+0:123+0], v[vgprValuB_X1_I0+2+0+0], v[vgprValuA_X1_I0+6+0+0+1], a[120:123]
 // Ci += Ai*Br
/*  mfmaIndex:246  */
/* sched write - iter 3 writesPerItem=1 */
s_waitcnt vmcnt(0)                                 // lgkmcnt=-1 vmcnt=0wait for global read before writing to local
_ds_store_b128 v[vgprLocalWriteAddrB], v[vgprG2LB+0:vgprG2LB+0+3] offset:0 // lwoB_0_0_0_0 = (0*LSCB)*(MT1J+PAD) + (0*LSPB) = 0
v_mfma_f32_16x16x4_f32 a[48+0:51+0], v[vgprValuB_X1_I0+2+0+0+1], v85, a[48:51]
 // Cr += -Ai*Bi
/*  mfmaIndex:247  */
v_mfma_f32_16x16x4_f32 a[120+0:123+0], v[vgprValuB_X1_I0+2+0+0+1], v[vgprValuA_X1_I0+6+0+0], a[120:123]
 // Ci += Ar*Bi
/*  mfmaIndex:248  */
v_add_f32 v85, -v[vgprValuA_X1_I0+8+0+0+1], 0      // Ai=-Ai
v_mfma_f32_16x16x4_f32 a[16+0:19+0], v[vgprValuB_X1_I0+0+0+0], v[vgprValuA_X1_I0+8+0+0], a[16:19]
 // Cr += Ar*Br
/*  mfmaIndex:249  */
v_mfma_f32_16x16x4_f32 a[88+0:91+0], v[vgprValuB_X1_I0+0+0+0], v[vgprValuA_X1_I0+8+0+0+1], a[88:91]
 // Ci += Ai*Br
/*  mfmaIndex:250  */
v_mfma_f32_16x16x4_f32 a[16+0:19+0], v[vgprValuB_X1_I0+0+0+0+1], v85, a[16:19]
 // Cr += -Ai*Bi
/*  mfmaIndex:251  */
v_mfma_f32_16x16x4_f32 a[88+0:91+0], v[vgprValuB_X1_I0+0+0+0+1], v[vgprValuA_X1_I0+8+0+0], a[88:91]
 // Ci += Ar*Bi
/*  mfmaIndex:252  */
v_mfma_f32_16x16x4_f32 a[52+0:55+0], v[vgprValuB_X1_I0+2+0+0], v[vgprValuA_X1_I0+8+0+0], a[52:55]
 // Cr += Ar*Br
/*  mfmaIndex:253  */
v_mfma_f32_16x16x4_f32 a[124+0:127+0], v[vgprValuB_X1_I0+2+0+0], v[vgprValuA_X1_I0+8+0+0+1], a[124:127]
 // Ci += Ai*Br
/*  mfmaIndex:254  */
v_mfma_f32_16x16x4_f32 a[52+0:55+0], v[vgprValuB_X1_I0+2+0+0+1], v85, a[52:55]
 // Cr += -Ai*Bi
/*  mfmaIndex:255  */
v_mfma_f32_16x16x4_f32 a[124+0:127+0], v[vgprValuB_X1_I0+2+0+0+1], v[vgprValuA_X1_I0+8+0+0], a[124:127]
 // Ci += Ar*Bi
/*  mfmaIndex:256  */
/* sched write - iter 3 writesPerItem=1 */
s_waitcnt vmcnt(0)                                 // lgkmcnt=-1 vmcnt=0wait for global read before writing to local
_ds_store_b128 v[vgprLocalWriteAddrB], v[vgprG2LB+4:vgprG2LB+4+3] offset:4608 // lwoB_0_0_1_0 = (0*LSCB)*(MT1J+PAD) + (1*LSPB) = 4608
v_add_f32 v85, -v[vgprValuA_X1_I0+10+0+0+1], 0     // Ai=-Ai
v_mfma_f32_16x16x4_f32 a[20+0:23+0], v[vgprValuB_X1_I0+0+0+0], v[vgprValuA_X1_I0+10+0+0], a[20:23]
 // Cr += Ar*Br
/*  mfmaIndex:257  */
v_mfma_f32_16x16x4_f32 a[92+0:95+0], v[vgprValuB_X1_I0+0+0+0], v[vgprValuA_X1_I0+10+0+0+1], a[92:95]
 // Ci += Ai*Br
/*  mfmaIndex:258  */
v_mfma_f32_16x16x4_f32 a[20+0:23+0], v[vgprValuB_X1_I0+0+0+0+1], v85, a[20:23]
 // Cr += -Ai*Bi
/*  mfmaIndex:259  */
v_mfma_f32_16x16x4_f32 a[92+0:95+0], v[vgprValuB_X1_I0+0+0+0+1], v[vgprValuA_X1_I0+10+0+0], a[92:95]
 // Ci += Ar*Bi
/*  mfmaIndex:260  */
v_mfma_f32_16x16x4_f32 a[56+0:59+0], v[vgprValuB_X1_I0+2+0+0], v[vgprValuA_X1_I0+10+0+0], a[56:59]
 // Cr += Ar*Br
/*  mfmaIndex:261  */
v_mfma_f32_16x16x4_f32 a[128+0:131+0], v[vgprValuB_X1_I0+2+0+0], v[vgprValuA_X1_I0+10+0+0+1], a[128:131]
 // Ci += Ai*Br
/*  mfmaIndex:262  */
v_mfma_f32_16x16x4_f32 a[56+0:59+0], v[vgprValuB_X1_I0+2+0+0+1], v85, a[56:59]
 // Cr += -Ai*Bi
/*  mfmaIndex:263  */
v_mfma_f32_16x16x4_f32 a[128+0:131+0], v[vgprValuB_X1_I0+2+0+0+1], v[vgprValuA_X1_I0+10+0+0], a[128:131]
 // Ci += Ar*Bi
/*  mfmaIndex:264  */
v_add_f32 v85, -v[vgprValuA_X1_I0+12+0+0+1], 0     // Ai=-Ai
v_mfma_f32_16x16x4_f32 a[24+0:27+0], v[vgprValuB_X1_I0+0+0+0], v[vgprValuA_X1_I0+12+0+0], a[24:27]
 // Cr += Ar*Br
/*  mfmaIndex:265  */
v_mfma_f32_16x16x4_f32 a[96+0:99+0], v[vgprValuB_X1_I0+0+0+0], v[vgprValuA_X1_I0+12+0+0+1], a[96:99]
 // Ci += Ai*Br
/*  mfmaIndex:266  */
/* sched write - iter 3 writesPerItem=1 */
s_waitcnt vmcnt(0)                                 // lgkmcnt=-1 vmcnt=0wait for global read before writing to local
_ds_store_b128 v[vgprLocalWriteAddrB], v[vgprG2LB+8:vgprG2LB+8+3] offset:9216 // lwoB_0_0_2_0 = (0*LSCB)*(MT1J+PAD) + (2*LSPB) = 9216
v_mfma_f32_16x16x4_f32 a[24+0:27+0], v[vgprValuB_X1_I0+0+0+0+1], v85, a[24:27]
 // Cr += -Ai*Bi
/*  mfmaIndex:267  */
v_mfma_f32_16x16x4_f32 a[96+0:99+0], v[vgprValuB_X1_I0+0+0+0+1], v[vgprValuA_X1_I0+12+0+0], a[96:99]
 // Ci += Ar*Bi
/*  mfmaIndex:268  */
v_mfma_f32_16x16x4_f32 a[60+0:63+0], v[vgprValuB_X1_I0+2+0+0], v[vgprValuA_X1_I0+12+0+0], a[60:63]
 // Cr += Ar*Br
/*  mfmaIndex:269  */
v_mfma_f32_16x16x4_f32 a[132+0:135+0], v[vgprValuB_X1_I0+2+0+0], v[vgprValuA_X1_I0+12+0+0+1], a[132:135]
 // Ci += Ai*Br
/*  mfmaIndex:270  */
v_mfma_f32_16x16x4_f32 a[60+0:63+0], v[vgprValuB_X1_I0+2+0+0+1], v85, a[60:63]
 // Cr += -Ai*Bi
/*  mfmaIndex:271  */
v_mfma_f32_16x16x4_f32 a[132+0:135+0], v[vgprValuB_X1_I0+2+0+0+1], v[vgprValuA_X1_I0+12+0+0], a[132:135]
 // Ci += Ar*Bi
/*  mfmaIndex:272  */
v_add_f32 v85, -v[vgprValuA_X1_I0+14+0+0+1], 0     // Ai=-Ai
v_mfma_f32_16x16x4_f32 a[28+0:31+0], v[vgprValuB_X1_I0+0+0+0], v[vgprValuA_X1_I0+14+0+0], a[28:31]
 // Cr += Ar*Br
/*  mfmaIndex:273  */
v_mfma_f32_16x16x4_f32 a[100+0:103+0], v[vgprValuB_X1_I0+0+0+0], v[vgprValuA_X1_I0+14+0+0+1], a[100:103]
 // Ci += Ai*Br
/*  mfmaIndex:274  */
v_mfma_f32_16x16x4_f32 a[28+0:31+0], v[vgprValuB_X1_I0+0+0+0+1], v85, a[28:31]
 // Cr += -Ai*Bi
/*  mfmaIndex:275  */
v_mfma_f32_16x16x4_f32 a[100+0:103+0], v[vgprValuB_X1_I0+0+0+0+1], v[vgprValuA_X1_I0+14+0+0], a[100:103]
 // Ci += Ar*Bi
/*  mfmaIndex:276  */
/* sched write - iter 3 writesPerItem=1 */
s_waitcnt vmcnt(0)                                 // lgkmcnt=-1 vmcnt=0wait for global read before writing to local
_ds_store_b128 v[vgprLocalWriteAddrB], v[vgprG2LB+12:vgprG2LB+12+3] offset:13824 // lwoB_0_0_3_0 = (0*LSCB)*(MT1J+PAD) + (3*LSPB) = 13824
v_mfma_f32_16x16x4_f32 a[64+0:67+0], v[vgprValuB_X1_I0+2+0+0], v[vgprValuA_X1_I0+14+0+0], a[64:67]
 // Cr += Ar*Br
/*  mfmaIndex:277  */

/* local write swap offsets a */

/* local write swap offsets b */
v_mfma_f32_16x16x4_f32 a[136+0:139+0], v[vgprValuB_X1_I0+2+0+0], v[vgprValuA_X1_I0+14+0+0+1], a[136:139]
 // Ci += Ai*Br
/*  mfmaIndex:278  */
v_mfma_f32_16x16x4_f32 a[64+0:67+0], v[vgprValuB_X1_I0+2+0+0+1], v85, a[64:67]
 // Cr += -Ai*Bi
s_setprio 0                                        // store optimization
/*  mfmaIndex:279  */
s_waitcnt lgkmcnt(0)                               // lgkmcnt=0 vmcnt=-13wait for local write
// Skip force waitcnt0
s_barrier //
v_mfma_f32_16x16x4_f32 a[136+0:139+0], v[vgprValuB_X1_I0+2+0+0+1], v[vgprValuA_X1_I0+14+0+0], a[136:139]
 // Ci += Ar*Bi
/*  mfmaIndex:280  */
s_setprio 3                                        // store optimization
_ds_load_b64 v[vgprValuA_X0_I0+0:vgprValuA_X0_I0+0+1], v[vgprLocalReadAddrA] offset:0 // L -> Reg lro=0 swapByteOffset=0 ti=16 vIdx=0 rIdx=0 oIdx=0 buffer=0 iui=0
_ds_load_b64 v[vgprValuB_X0_I0+0:vgprValuB_X0_I0+0+1], v[vgprLocalReadAddrB] offset:0 // L -> Reg lro=0 swapByteOffset=0 ti=64 vIdx=0 rIdx=0 oIdx=0 buffer=0 iui=0
v_add_f32 v85, -v[vgprValuA_X1_I0+16+0+0+1], 0     // Ai=-Ai
v_mfma_f32_16x16x4_f32 a[32+0:35+0], v[vgprValuB_X1_I0+0+0+0], v[vgprValuA_X1_I0+16+0+0], a[32:35]
 // Cr += Ar*Br
/*  mfmaIndex:281  */
_ds_load_b64 v[vgprValuA_X0_I0+2:vgprValuA_X0_I0+2+1], v[vgprLocalReadAddrA] offset:2176 // L -> Reg lro=0 swapByteOffset=0 ti=16 vIdx=1 rIdx=0 oIdx=0 buffer=0 iui=0
_ds_load_b64 v[vgprValuA_X0_I0+4:vgprValuA_X0_I0+4+1], v[vgprLocalReadAddrA] offset:4352 // L -> Reg lro=0 swapByteOffset=0 ti=16 vIdx=2 rIdx=0 oIdx=0 buffer=0 iui=0
v_mfma_f32_16x16x4_f32 a[104+0:107+0], v[vgprValuB_X1_I0+0+0+0], v[vgprValuA_X1_I0+16+0+0+1], a[104:107]
 // Ci += Ai*Br
/*  mfmaIndex:282  */
_ds_load_b64 v[vgprValuA_X0_I0+6:vgprValuA_X0_I0+6+1], v[vgprLocalReadAddrA] offset:6528 // L -> Reg lro=0 swapByteOffset=0 ti=16 vIdx=3 rIdx=0 oIdx=0 buffer=0 iui=0
_ds_load_b64 v[vgprValuA_X0_I0+8:vgprValuA_X0_I0+8+1], v[vgprLocalReadAddrA] offset:8704 // L -> Reg lro=0 swapByteOffset=0 ti=16 vIdx=4 rIdx=0 oIdx=0 buffer=0 iui=0
v_mfma_f32_16x16x4_f32 a[32+0:35+0], v[vgprValuB_X1_I0+0+0+0+1], v85, a[32:35]
 // Cr += -Ai*Bi
/*  mfmaIndex:283  */
_ds_load_b64 v[vgprValuA_X0_I0+10:vgprValuA_X0_I0+10+1], v[vgprLocalReadAddrA] offset:10880 // L -> Reg lro=0 swapByteOffset=0 ti=16 vIdx=5 rIdx=0 oIdx=0 buffer=0 iui=0
_ds_load_b64 v[vgprValuA_X0_I0+12:vgprValuA_X0_I0+12+1], v[vgprLocalReadAddrA] offset:13056 // L -> Reg lro=0 swapByteOffset=0 ti=16 vIdx=6 rIdx=0 oIdx=0 buffer=0 iui=0
v_mfma_f32_16x16x4_f32 a[104+0:107+0], v[vgprValuB_X1_I0+0+0+0+1], v[vgprValuA_X1_I0+16+0+0], a[104:107]
 // Ci += Ar*Bi
/*  mfmaIndex:284  */
_ds_load_b64 v[vgprValuA_X0_I0+14:vgprValuA_X0_I0+14+1], v[vgprLocalReadAddrA] offset:15232 // L -> Reg lro=0 swapByteOffset=0 ti=16 vIdx=7 rIdx=0 oIdx=0 buffer=0 iui=0
_ds_load_b64 v[vgprValuA_X0_I0+16:vgprValuA_X0_I0+16+1], v[vgprLocalReadAddrA] offset:17408 // L -> Reg lro=0 swapByteOffset=0 ti=16 vIdx=8 rIdx=0 oIdx=0 buffer=0 iui=0
v_mfma_f32_16x16x4_f32 a[68+0:71+0], v[vgprValuB_X1_I0+2+0+0], v[vgprValuA_X1_I0+16+0+0], a[68:71]
 // Cr += Ar*Br
/*  mfmaIndex:285  */
_ds_load_b64 v[vgprValuB_X0_I0+2:vgprValuB_X0_I0+2+1], v[vgprLocalReadAddrB] offset:9216 // L -> Reg lro=0 swapByteOffset=0 ti=64 vIdx=1 rIdx=0 oIdx=0 buffer=0 iui=0
v_mfma_f32_16x16x4_f32 a[140+0:143+0], v[vgprValuB_X1_I0+2+0+0], v[vgprValuA_X1_I0+16+0+0+1], a[140:143]
 // Ci += Ai*Br
/*  mfmaIndex:286  */
v_mfma_f32_16x16x4_f32 a[68+0:71+0], v[vgprValuB_X1_I0+2+0+0+1], v85, a[68:71]
 // Cr += -Ai*Bi
/*  mfmaIndex:287  */
v_mfma_f32_16x16x4_f32 a[140+0:143+0], v[vgprValuB_X1_I0+2+0+0+1], v[vgprValuA_X1_I0+16+0+0], a[140:143]
 // Ci += Ar*Bi
s_setprio 0                                        // store optimization
/* numPrefetchIter=1 */
/* dataAtIterA=2 numReadsIterA=3 skipReadsIterA=1 readsPerIterA=9 */
/* dataAtIterB=2 numReadsIterB=3 skipReadsIterB=1 readsPerIterB=2 */

label_0014:


/******************************************/
/* Opt. NoLoadLoop Without PAP - Begin                                      */
/******************************************/

s_mov_b32 s72, s[sgprBeta+0]                       // tmp = Beta[0]
s_or_b32 s72, s[sgprBeta+1], s72                   // tmp |= Beta[1] 
s_cmpk_eq_u32 s72, 0x0                             // Beta == 0
s_cbranch_scc0 OptNLL_End_17                       // Branch if Beta is not zero

s_mov_b32 s72, 1.0                                 // Real part of 1.0
s_mov_b32 s73, 0.0                                 // Imaginary part of 1.0
s_cmp_eq_u64 s[sgprAlpha:sgprAlpha+1], s[72:73]    // Alpha == 1.0 ?
s_cbranch_scc0 OptNLL_End_17                       // branch if alpha != 1

s_mov_b32 s75, 0x0                                 // STATIC_DIV: divisior=144
s_mul_i32 s74, 0x38e, s[sgprSizeI]                 // tmp1 = dividend * magic hi
s_lshl_b64 s[74:75], s[74:75], 0x10                // left shift 16 bits
s_mul_i32 s73, s[sgprSizeI], 0x38e4                // tmp0 = dividend * magic lo
s_add_u32 s74, s73, s74                            // add lo
s_addc_u32 s75, s75, 0x0                           // add hi
s_lshr_b64 s[74:75], s[74:75], 0x21                // tmp1 = (dividend * magic) << shift
s_mov_b32 s73, s74                                 // quotient
s_mul_i32 s74, s73, 0x90                           // quotient*divisor
s_sub_u32 s72, s[sgprSizeI], s74                   // rReg = dividend - quotient*divisor
s_add_u32 s73, -0x1, s[sgprNumWorkGroups0]         // 
s_cmp_ge_u32 s[sgprWorkGroup0], s73                // wg0 >= nwg0-1 ?
s_cselect_b32 s72, s72, 0                          // set rMT0
s_cmpk_gt_u32 s72, 0x0                             // rMT0 > 0
s_cbranch_scc1 OptNLL_End_17                       // jump if edges required
s_and_b32 s72, 127, s[sgprSizeJ]                   // s72 = s[sgprSizeJ] % 128
s_add_u32 s73, -0x1, s[sgprNumWorkGroups1]         // 
s_cmp_ge_u32 s[sgprWorkGroup1], s73                // wg1 >= nwg1-1
s_cselect_b32 s72, s72, 0                          // set rMT1
s_cmpk_gt_u32 s72, 0x0                             // rMT1 > 0
s_cbranch_scc1 OptNLL_End_17                       // jump if edges required

s_and_b32 s73, 15, s[sgprSizesSum+0]               // s73 = s[sgprSizesSum+0] % 16
s_cmp_eq_u32 s73, 0x0                              // numIterL == 0
s_cbranch_scc0 OptNLL_End_17                       // skip if tail loop required


	;; [unrolled: 1-line block ×3, first 2 shown]
/* iter 0 (last unrolled loop) */

/*  grEndMfmaIndex:0, lwStartMfmaIndex:277, lwEndMfmaIndex:277  */
/*  numMfmaForLR:8, barrierMfmaIndex:279, LocalWritePerMfma:0.100 */
/*  mfmaIndex:0  */
s_waitcnt lgkmcnt(0)                               // lgkmcnt=0 vmcnt=-1wait for prior local read local write old=0, new=0 newLW=0 newLR=0
v_add_f32 v85, -v[vgprValuA_X0_I0+0+0+0+1], 0      // Ai=-Ai
v_mfma_f32_16x16x4_f32 a[0+0:3+0], v[vgprValuB_X0_I0+0+0+0], v[vgprValuA_X0_I0+0+0+0], a[0:3]
 // Cr += Ar*Br
/*  mfmaIndex:1  */
_ds_load_b64 v[vgprValuA_X1_I0+0:vgprValuA_X1_I0+0+1], v[vgprLocalReadAddrA] offset:32 // L -> Reg lro=4 swapByteOffset=0 ti=16 vIdx=0 rIdx=0 oIdx=0 buffer=1 iui=0
_ds_load_b64 v[vgprValuB_X1_I0+0:vgprValuB_X1_I0+0+1], v[vgprLocalReadAddrB] offset:32 // L -> Reg lro=4 swapByteOffset=0 ti=64 vIdx=0 rIdx=0 oIdx=0 buffer=1 iui=0
v_mfma_f32_16x16x4_f32 a[72+0:75+0], v[vgprValuB_X0_I0+0+0+0], v[vgprValuA_X0_I0+0+0+0+1], a[72:75]
 // Ci += Ai*Br
/*  mfmaIndex:2  */
_ds_load_b64 v[vgprValuA_X1_I0+2:vgprValuA_X1_I0+2+1], v[vgprLocalReadAddrA] offset:2208 // L -> Reg lro=4 swapByteOffset=0 ti=16 vIdx=1 rIdx=0 oIdx=0 buffer=1 iui=0
_ds_load_b64 v[vgprValuA_X1_I0+4:vgprValuA_X1_I0+4+1], v[vgprLocalReadAddrA] offset:4384 // L -> Reg lro=4 swapByteOffset=0 ti=16 vIdx=2 rIdx=0 oIdx=0 buffer=1 iui=0
v_mfma_f32_16x16x4_f32 a[0+0:3+0], v[vgprValuB_X0_I0+0+0+0+1], v85, a[0:3]
 // Cr += -Ai*Bi
/*  mfmaIndex:3  */
_ds_load_b64 v[vgprValuA_X1_I0+6:vgprValuA_X1_I0+6+1], v[vgprLocalReadAddrA] offset:6560 // L -> Reg lro=4 swapByteOffset=0 ti=16 vIdx=3 rIdx=0 oIdx=0 buffer=1 iui=0
_ds_load_b64 v[vgprValuA_X1_I0+8:vgprValuA_X1_I0+8+1], v[vgprLocalReadAddrA] offset:8736 // L -> Reg lro=4 swapByteOffset=0 ti=16 vIdx=4 rIdx=0 oIdx=0 buffer=1 iui=0
v_mfma_f32_16x16x4_f32 a[72+0:75+0], v[vgprValuB_X0_I0+0+0+0+1], v[vgprValuA_X0_I0+0+0+0], a[72:75]
 // Ci += Ar*Bi
/*  mfmaIndex:4  */
_ds_load_b64 v[vgprValuA_X1_I0+10:vgprValuA_X1_I0+10+1], v[vgprLocalReadAddrA] offset:10912 // L -> Reg lro=4 swapByteOffset=0 ti=16 vIdx=5 rIdx=0 oIdx=0 buffer=1 iui=0
_ds_load_b64 v[vgprValuA_X1_I0+12:vgprValuA_X1_I0+12+1], v[vgprLocalReadAddrA] offset:13088 // L -> Reg lro=4 swapByteOffset=0 ti=16 vIdx=6 rIdx=0 oIdx=0 buffer=1 iui=0
v_mfma_f32_16x16x4_f32 a[36+0:39+0], v[vgprValuB_X0_I0+2+0+0], v[vgprValuA_X0_I0+0+0+0], a[36:39]
 // Cr += Ar*Br
/*  mfmaIndex:5  */
_ds_load_b64 v[vgprValuA_X1_I0+14:vgprValuA_X1_I0+14+1], v[vgprLocalReadAddrA] offset:15264 // L -> Reg lro=4 swapByteOffset=0 ti=16 vIdx=7 rIdx=0 oIdx=0 buffer=1 iui=0
_ds_load_b64 v[vgprValuA_X1_I0+16:vgprValuA_X1_I0+16+1], v[vgprLocalReadAddrA] offset:17440 // L -> Reg lro=4 swapByteOffset=0 ti=16 vIdx=8 rIdx=0 oIdx=0 buffer=1 iui=0
v_mfma_f32_16x16x4_f32 a[108+0:111+0], v[vgprValuB_X0_I0+2+0+0], v[vgprValuA_X0_I0+0+0+0+1], a[108:111]
 // Ci += Ai*Br
/*  mfmaIndex:6  */
_ds_load_b64 v[vgprValuB_X1_I0+2:vgprValuB_X1_I0+2+1], v[vgprLocalReadAddrB] offset:9248 // L -> Reg lro=4 swapByteOffset=0 ti=64 vIdx=1 rIdx=0 oIdx=0 buffer=1 iui=0
/* localReadsVacancy: latencyLeft 3 */
v_mfma_f32_16x16x4_f32 a[36+0:39+0], v[vgprValuB_X0_I0+2+0+0+1], v85, a[36:39]
 // Cr += -Ai*Bi
/*  mfmaIndex:7  */
/* localReadsVacancy: latencyLeft 5 */
v_mfma_f32_16x16x4_f32 a[108+0:111+0], v[vgprValuB_X0_I0+2+0+0+1], v[vgprValuA_X0_I0+0+0+0], a[108:111]
 // Ci += Ar*Bi
/*  mfmaIndex:8  */
/* localReadsVacancy: latencyLeft 5 */
v_add_f32 v85, -v[vgprValuA_X0_I0+2+0+0+1], 0      // Ai=-Ai
v_mfma_f32_16x16x4_f32 a[4+0:7+0], v[vgprValuB_X0_I0+0+0+0], v[vgprValuA_X0_I0+2+0+0], a[4:7]
 // Cr += Ar*Br
/*  mfmaIndex:9  */
/* localReadsVacancy: latencyLeft 5 */
v_mfma_f32_16x16x4_f32 a[76+0:79+0], v[vgprValuB_X0_I0+0+0+0], v[vgprValuA_X0_I0+2+0+0+1], a[76:79]
 // Ci += Ai*Br
/*  mfmaIndex:10  */
/* localReadsVacancy: latencyLeft 5 */
v_mfma_f32_16x16x4_f32 a[4+0:7+0], v[vgprValuB_X0_I0+0+0+0+1], v85, a[4:7]
 // Cr += -Ai*Bi
/*  mfmaIndex:11  */
/* localReadsVacancy: latencyLeft 5 */
v_mfma_f32_16x16x4_f32 a[76+0:79+0], v[vgprValuB_X0_I0+0+0+0+1], v[vgprValuA_X0_I0+2+0+0], a[76:79]
 // Ci += Ar*Bi
/*  mfmaIndex:12  */
/* localReadsVacancy: latencyLeft 5 */
v_mfma_f32_16x16x4_f32 a[40+0:43+0], v[vgprValuB_X0_I0+2+0+0], v[vgprValuA_X0_I0+2+0+0], a[40:43]
 // Cr += Ar*Br
/*  mfmaIndex:13  */
/* localReadsVacancy: latencyLeft 5 */
v_mfma_f32_16x16x4_f32 a[112+0:115+0], v[vgprValuB_X0_I0+2+0+0], v[vgprValuA_X0_I0+2+0+0+1], a[112:115]
 // Ci += Ai*Br
/*  mfmaIndex:14  */
/* localReadsVacancy: latencyLeft 5 */
v_mfma_f32_16x16x4_f32 a[40+0:43+0], v[vgprValuB_X0_I0+2+0+0+1], v85, a[40:43]
 // Cr += -Ai*Bi
/*  mfmaIndex:15  */
/* localReadsVacancy: latencyLeft 5 */
v_mfma_f32_16x16x4_f32 a[112+0:115+0], v[vgprValuB_X0_I0+2+0+0+1], v[vgprValuA_X0_I0+2+0+0], a[112:115]
 // Ci += Ar*Bi
/*  mfmaIndex:16  */
/* localReadsVacancy: latencyLeft 5 */
v_add_f32 v85, -v[vgprValuA_X0_I0+4+0+0+1], 0      // Ai=-Ai
v_mfma_f32_16x16x4_f32 a[8+0:11+0], v[vgprValuB_X0_I0+0+0+0], v[vgprValuA_X0_I0+4+0+0], a[8:11]
 // Cr += Ar*Br
/*  mfmaIndex:17  */
/* localReadsVacancy: latencyLeft 5 */
v_mfma_f32_16x16x4_f32 a[80+0:83+0], v[vgprValuB_X0_I0+0+0+0], v[vgprValuA_X0_I0+4+0+0+1], a[80:83]
 // Ci += Ai*Br
/*  mfmaIndex:18  */
/* localReadsVacancy: latencyLeft 5 */
v_mfma_f32_16x16x4_f32 a[8+0:11+0], v[vgprValuB_X0_I0+0+0+0+1], v85, a[8:11]
 // Cr += -Ai*Bi
/*  mfmaIndex:19  */
/* localReadsVacancy: latencyLeft 5 */
v_mfma_f32_16x16x4_f32 a[80+0:83+0], v[vgprValuB_X0_I0+0+0+0+1], v[vgprValuA_X0_I0+4+0+0], a[80:83]
 // Ci += Ar*Bi
/*  mfmaIndex:20  */
/* localReadsVacancy: latencyLeft 5 */
v_mfma_f32_16x16x4_f32 a[44+0:47+0], v[vgprValuB_X0_I0+2+0+0], v[vgprValuA_X0_I0+4+0+0], a[44:47]
 // Cr += Ar*Br
/*  mfmaIndex:21  */
/* localReadsVacancy: latencyLeft 5 */
v_mfma_f32_16x16x4_f32 a[116+0:119+0], v[vgprValuB_X0_I0+2+0+0], v[vgprValuA_X0_I0+4+0+0+1], a[116:119]
 // Ci += Ai*Br
/*  mfmaIndex:22  */
	;; [unrolled: 33-line block ×4, first 2 shown]
/* localReadsVacancy: latencyLeft 5 */
v_mfma_f32_16x16x4_f32 a[52+0:55+0], v[vgprValuB_X0_I0+2+0+0+1], v85, a[52:55]
 // Cr += -Ai*Bi
/*  mfmaIndex:39  */
/* localReadsVacancy: latencyLeft 5 */
v_mfma_f32_16x16x4_f32 a[124+0:127+0], v[vgprValuB_X0_I0+2+0+0+1], v[vgprValuA_X0_I0+8+0+0], a[124:127]
 // Ci += Ar*Bi
/*  mfmaIndex:40  */
/* localReadsVacancy: latencyLeft 5 */
v_add_f32 v85, -v[vgprValuA_X0_I0+10+0+0+1], 0     // Ai=-Ai
v_mfma_f32_16x16x4_f32 a[20+0:23+0], v[vgprValuB_X0_I0+0+0+0], v[vgprValuA_X0_I0+10+0+0], a[20:23]
 // Cr += Ar*Br
/*  mfmaIndex:41  */
/* localReadsVacancy: latencyLeft 5 */
v_mfma_f32_16x16x4_f32 a[92+0:95+0], v[vgprValuB_X0_I0+0+0+0], v[vgprValuA_X0_I0+10+0+0+1], a[92:95]
 // Ci += Ai*Br
/*  mfmaIndex:42  */
/* localReadsVacancy: latencyLeft 5 */
v_mfma_f32_16x16x4_f32 a[20+0:23+0], v[vgprValuB_X0_I0+0+0+0+1], v85, a[20:23]
 // Cr += -Ai*Bi
/*  mfmaIndex:43  */
/* localReadsVacancy: latencyLeft 5 */
v_mfma_f32_16x16x4_f32 a[92+0:95+0], v[vgprValuB_X0_I0+0+0+0+1], v[vgprValuA_X0_I0+10+0+0], a[92:95]
 // Ci += Ar*Bi
/*  mfmaIndex:44  */
/* localReadsVacancy: latencyLeft 5 */
v_mfma_f32_16x16x4_f32 a[56+0:59+0], v[vgprValuB_X0_I0+2+0+0], v[vgprValuA_X0_I0+10+0+0], a[56:59]
 // Cr += Ar*Br
/*  mfmaIndex:45  */
/* localReadsVacancy: latencyLeft 5 */
v_mfma_f32_16x16x4_f32 a[128+0:131+0], v[vgprValuB_X0_I0+2+0+0], v[vgprValuA_X0_I0+10+0+0+1], a[128:131]
 // Ci += Ai*Br
/*  mfmaIndex:46  */
/* localReadsVacancy: latencyLeft 5 */
v_mfma_f32_16x16x4_f32 a[56+0:59+0], v[vgprValuB_X0_I0+2+0+0+1], v85, a[56:59]
 // Cr += -Ai*Bi
/*  mfmaIndex:47  */
/* localReadsVacancy: latencyLeft 5 */
v_mfma_f32_16x16x4_f32 a[128+0:131+0], v[vgprValuB_X0_I0+2+0+0+1], v[vgprValuA_X0_I0+10+0+0], a[128:131]
 // Ci += Ar*Bi
/*  mfmaIndex:48  */
/* localReadsVacancy: latencyLeft 5 */
v_add_f32 v85, -v[vgprValuA_X0_I0+12+0+0+1], 0     // Ai=-Ai
v_mfma_f32_16x16x4_f32 a[24+0:27+0], v[vgprValuB_X0_I0+0+0+0], v[vgprValuA_X0_I0+12+0+0], a[24:27]
 // Cr += Ar*Br
/*  mfmaIndex:49  */
/* localReadsVacancy: latencyLeft 5 */
v_mfma_f32_16x16x4_f32 a[96+0:99+0], v[vgprValuB_X0_I0+0+0+0], v[vgprValuA_X0_I0+12+0+0+1], a[96:99]
 // Ci += Ai*Br
/*  mfmaIndex:50  */
/* localReadsVacancy: latencyLeft 5 */
v_mfma_f32_16x16x4_f32 a[24+0:27+0], v[vgprValuB_X0_I0+0+0+0+1], v85, a[24:27]
 // Cr += -Ai*Bi
/*  mfmaIndex:51  */
/* localReadsVacancy: latencyLeft 5 */
v_mfma_f32_16x16x4_f32 a[96+0:99+0], v[vgprValuB_X0_I0+0+0+0+1], v[vgprValuA_X0_I0+12+0+0], a[96:99]
 // Ci += Ar*Bi
/*  mfmaIndex:52  */
/* localReadsVacancy: latencyLeft 5 */
v_mfma_f32_16x16x4_f32 a[60+0:63+0], v[vgprValuB_X0_I0+2+0+0], v[vgprValuA_X0_I0+12+0+0], a[60:63]
 // Cr += Ar*Br
/*  mfmaIndex:53  */
/* localReadsVacancy: latencyLeft 5 */
v_mfma_f32_16x16x4_f32 a[132+0:135+0], v[vgprValuB_X0_I0+2+0+0], v[vgprValuA_X0_I0+12+0+0+1], a[132:135]
 // Ci += Ai*Br
/*  mfmaIndex:54  */
	;; [unrolled: 33-line block ×4, first 2 shown]
/* localReadsVacancy: latencyLeft 5 */
v_mfma_f32_16x16x4_f32 a[68+0:71+0], v[vgprValuB_X0_I0+2+0+0+1], v85, a[68:71]
 // Cr += -Ai*Bi
/*  mfmaIndex:71  */
/* localReadsVacancy: latencyLeft 5 */
v_mfma_f32_16x16x4_f32 a[140+0:143+0], v[vgprValuB_X0_I0+2+0+0+1], v[vgprValuA_X0_I0+16+0+0], a[140:143]
 // Ci += Ar*Bi
/* numPrefetchIter=0 */
/* dataAtIterA=-1 numReadsIterA=1 skipReadsIterA=1 readsPerIterA=9 */
/* dataAtIterB=-1 numReadsIterB=1 skipReadsIterB=1 readsPerIterB=2 */


/* iter 1 (last unrolled loop) */

/*  grEndMfmaIndex:0, lwStartMfmaIndex:277, lwEndMfmaIndex:277  */
/*  numMfmaForLR:8, barrierMfmaIndex:279, LocalWritePerMfma:0.100 */
/*  mfmaIndex:72  */
_ds_load_b64 v[vgprValuA_X0_I0+0:vgprValuA_X0_I0+0+1], v[vgprLocalReadAddrA] offset:64 // L -> Reg lro=8 swapByteOffset=0 ti=16 vIdx=0 rIdx=0 oIdx=0 buffer=0 iui=0
_ds_load_b64 v[vgprValuB_X0_I0+0:vgprValuB_X0_I0+0+1], v[vgprLocalReadAddrB] offset:64 // L -> Reg lro=8 swapByteOffset=0 ti=64 vIdx=0 rIdx=0 oIdx=0 buffer=0 iui=0
s_waitcnt lgkmcnt(2)                               // lgkmcnt=0 vmcnt=-1wait for prior local read local write old=0, new=2 newLW=0 newLR=2
v_add_f32 v85, -v[vgprValuA_X1_I0+0+0+0+1], 0      // Ai=-Ai
v_mfma_f32_16x16x4_f32 a[0+0:3+0], v[vgprValuB_X1_I0+0+0+0], v[vgprValuA_X1_I0+0+0+0], a[0:3]
 // Cr += Ar*Br
/*  mfmaIndex:73  */
_ds_load_b64 v[vgprValuA_X0_I0+2:vgprValuA_X0_I0+2+1], v[vgprLocalReadAddrA] offset:2240 // L -> Reg lro=8 swapByteOffset=0 ti=16 vIdx=1 rIdx=0 oIdx=0 buffer=0 iui=0
_ds_load_b64 v[vgprValuA_X0_I0+4:vgprValuA_X0_I0+4+1], v[vgprLocalReadAddrA] offset:4416 // L -> Reg lro=8 swapByteOffset=0 ti=16 vIdx=2 rIdx=0 oIdx=0 buffer=0 iui=0
v_mfma_f32_16x16x4_f32 a[72+0:75+0], v[vgprValuB_X1_I0+0+0+0], v[vgprValuA_X1_I0+0+0+0+1], a[72:75]
 // Ci += Ai*Br
/*  mfmaIndex:74  */
_ds_load_b64 v[vgprValuA_X0_I0+6:vgprValuA_X0_I0+6+1], v[vgprLocalReadAddrA] offset:6592 // L -> Reg lro=8 swapByteOffset=0 ti=16 vIdx=3 rIdx=0 oIdx=0 buffer=0 iui=0
_ds_load_b64 v[vgprValuA_X0_I0+8:vgprValuA_X0_I0+8+1], v[vgprLocalReadAddrA] offset:8768 // L -> Reg lro=8 swapByteOffset=0 ti=16 vIdx=4 rIdx=0 oIdx=0 buffer=0 iui=0
v_mfma_f32_16x16x4_f32 a[0+0:3+0], v[vgprValuB_X1_I0+0+0+0+1], v85, a[0:3]
 // Cr += -Ai*Bi
/*  mfmaIndex:75  */
_ds_load_b64 v[vgprValuA_X0_I0+10:vgprValuA_X0_I0+10+1], v[vgprLocalReadAddrA] offset:10944 // L -> Reg lro=8 swapByteOffset=0 ti=16 vIdx=5 rIdx=0 oIdx=0 buffer=0 iui=0
_ds_load_b64 v[vgprValuA_X0_I0+12:vgprValuA_X0_I0+12+1], v[vgprLocalReadAddrA] offset:13120 // L -> Reg lro=8 swapByteOffset=0 ti=16 vIdx=6 rIdx=0 oIdx=0 buffer=0 iui=0
v_mfma_f32_16x16x4_f32 a[72+0:75+0], v[vgprValuB_X1_I0+0+0+0+1], v[vgprValuA_X1_I0+0+0+0], a[72:75]
 // Ci += Ar*Bi
/*  mfmaIndex:76  */
_ds_load_b64 v[vgprValuA_X0_I0+14:vgprValuA_X0_I0+14+1], v[vgprLocalReadAddrA] offset:15296 // L -> Reg lro=8 swapByteOffset=0 ti=16 vIdx=7 rIdx=0 oIdx=0 buffer=0 iui=0
_ds_load_b64 v[vgprValuA_X0_I0+16:vgprValuA_X0_I0+16+1], v[vgprLocalReadAddrA] offset:17472 // L -> Reg lro=8 swapByteOffset=0 ti=16 vIdx=8 rIdx=0 oIdx=0 buffer=0 iui=0
v_mfma_f32_16x16x4_f32 a[36+0:39+0], v[vgprValuB_X1_I0+2+0+0], v[vgprValuA_X1_I0+0+0+0], a[36:39]
 // Cr += Ar*Br
/*  mfmaIndex:77  */
_ds_load_b64 v[vgprValuB_X0_I0+2:vgprValuB_X0_I0+2+1], v[vgprLocalReadAddrB] offset:9280 // L -> Reg lro=8 swapByteOffset=0 ti=64 vIdx=1 rIdx=0 oIdx=0 buffer=0 iui=0
/* localReadsVacancy: latencyLeft 3 */
v_mfma_f32_16x16x4_f32 a[108+0:111+0], v[vgprValuB_X1_I0+2+0+0], v[vgprValuA_X1_I0+0+0+0+1], a[108:111]
 // Ci += Ai*Br
/*  mfmaIndex:78  */
/* localReadsVacancy: latencyLeft 5 */
v_mfma_f32_16x16x4_f32 a[36+0:39+0], v[vgprValuB_X1_I0+2+0+0+1], v85, a[36:39]
 // Cr += -Ai*Bi
/*  mfmaIndex:79  */
/* localReadsVacancy: latencyLeft 5 */
v_mfma_f32_16x16x4_f32 a[108+0:111+0], v[vgprValuB_X1_I0+2+0+0+1], v[vgprValuA_X1_I0+0+0+0], a[108:111]
 // Ci += Ar*Bi
/*  mfmaIndex:80  */
/* localReadsVacancy: latencyLeft 5 */
v_add_f32 v85, -v[vgprValuA_X1_I0+2+0+0+1], 0      // Ai=-Ai
v_mfma_f32_16x16x4_f32 a[4+0:7+0], v[vgprValuB_X1_I0+0+0+0], v[vgprValuA_X1_I0+2+0+0], a[4:7]
 // Cr += Ar*Br
/*  mfmaIndex:81  */
/* localReadsVacancy: latencyLeft 5 */
v_mfma_f32_16x16x4_f32 a[76+0:79+0], v[vgprValuB_X1_I0+0+0+0], v[vgprValuA_X1_I0+2+0+0+1], a[76:79]
 // Ci += Ai*Br
/*  mfmaIndex:82  */
/* localReadsVacancy: latencyLeft 5 */
v_mfma_f32_16x16x4_f32 a[4+0:7+0], v[vgprValuB_X1_I0+0+0+0+1], v85, a[4:7]
 // Cr += -Ai*Bi
/*  mfmaIndex:83  */
/* localReadsVacancy: latencyLeft 5 */
v_mfma_f32_16x16x4_f32 a[76+0:79+0], v[vgprValuB_X1_I0+0+0+0+1], v[vgprValuA_X1_I0+2+0+0], a[76:79]
 // Ci += Ar*Bi
/*  mfmaIndex:84  */
/* localReadsVacancy: latencyLeft 5 */
v_mfma_f32_16x16x4_f32 a[40+0:43+0], v[vgprValuB_X1_I0+2+0+0], v[vgprValuA_X1_I0+2+0+0], a[40:43]
 // Cr += Ar*Br
/*  mfmaIndex:85  */
/* localReadsVacancy: latencyLeft 5 */
v_mfma_f32_16x16x4_f32 a[112+0:115+0], v[vgprValuB_X1_I0+2+0+0], v[vgprValuA_X1_I0+2+0+0+1], a[112:115]
 // Ci += Ai*Br
/*  mfmaIndex:86  */
/* localReadsVacancy: latencyLeft 5 */
v_mfma_f32_16x16x4_f32 a[40+0:43+0], v[vgprValuB_X1_I0+2+0+0+1], v85, a[40:43]
 // Cr += -Ai*Bi
/*  mfmaIndex:87  */
/* localReadsVacancy: latencyLeft 5 */
v_mfma_f32_16x16x4_f32 a[112+0:115+0], v[vgprValuB_X1_I0+2+0+0+1], v[vgprValuA_X1_I0+2+0+0], a[112:115]
 // Ci += Ar*Bi
/*  mfmaIndex:88  */
/* localReadsVacancy: latencyLeft 5 */
v_add_f32 v85, -v[vgprValuA_X1_I0+4+0+0+1], 0      // Ai=-Ai
v_mfma_f32_16x16x4_f32 a[8+0:11+0], v[vgprValuB_X1_I0+0+0+0], v[vgprValuA_X1_I0+4+0+0], a[8:11]
 // Cr += Ar*Br
/*  mfmaIndex:89  */
/* localReadsVacancy: latencyLeft 5 */
v_mfma_f32_16x16x4_f32 a[80+0:83+0], v[vgprValuB_X1_I0+0+0+0], v[vgprValuA_X1_I0+4+0+0+1], a[80:83]
 // Ci += Ai*Br
/*  mfmaIndex:90  */
/* localReadsVacancy: latencyLeft 5 */
v_mfma_f32_16x16x4_f32 a[8+0:11+0], v[vgprValuB_X1_I0+0+0+0+1], v85, a[8:11]
 // Cr += -Ai*Bi
/*  mfmaIndex:91  */
/* localReadsVacancy: latencyLeft 5 */
v_mfma_f32_16x16x4_f32 a[80+0:83+0], v[vgprValuB_X1_I0+0+0+0+1], v[vgprValuA_X1_I0+4+0+0], a[80:83]
 // Ci += Ar*Bi
/*  mfmaIndex:92  */
/* localReadsVacancy: latencyLeft 5 */
v_mfma_f32_16x16x4_f32 a[44+0:47+0], v[vgprValuB_X1_I0+2+0+0], v[vgprValuA_X1_I0+4+0+0], a[44:47]
 // Cr += Ar*Br
/*  mfmaIndex:93  */
	;; [unrolled: 33-line block ×4, first 2 shown]
/* localReadsVacancy: latencyLeft 5 */
v_mfma_f32_16x16x4_f32 a[124+0:127+0], v[vgprValuB_X1_I0+2+0+0], v[vgprValuA_X1_I0+8+0+0+1], a[124:127]
 // Ci += Ai*Br
/*  mfmaIndex:110  */
/* localReadsVacancy: latencyLeft 5 */
v_mfma_f32_16x16x4_f32 a[52+0:55+0], v[vgprValuB_X1_I0+2+0+0+1], v85, a[52:55]
 // Cr += -Ai*Bi
/*  mfmaIndex:111  */
/* localReadsVacancy: latencyLeft 5 */
v_mfma_f32_16x16x4_f32 a[124+0:127+0], v[vgprValuB_X1_I0+2+0+0+1], v[vgprValuA_X1_I0+8+0+0], a[124:127]
 // Ci += Ar*Bi
/*  mfmaIndex:112  */
/* localReadsVacancy: latencyLeft 5 */
v_add_f32 v85, -v[vgprValuA_X1_I0+10+0+0+1], 0     // Ai=-Ai
v_mfma_f32_16x16x4_f32 a[20+0:23+0], v[vgprValuB_X1_I0+0+0+0], v[vgprValuA_X1_I0+10+0+0], a[20:23]
 // Cr += Ar*Br
/*  mfmaIndex:113  */
/* localReadsVacancy: latencyLeft 5 */
v_mfma_f32_16x16x4_f32 a[92+0:95+0], v[vgprValuB_X1_I0+0+0+0], v[vgprValuA_X1_I0+10+0+0+1], a[92:95]
 // Ci += Ai*Br
/*  mfmaIndex:114  */
/* localReadsVacancy: latencyLeft 5 */
v_mfma_f32_16x16x4_f32 a[20+0:23+0], v[vgprValuB_X1_I0+0+0+0+1], v85, a[20:23]
 // Cr += -Ai*Bi
/*  mfmaIndex:115  */
/* localReadsVacancy: latencyLeft 5 */
v_mfma_f32_16x16x4_f32 a[92+0:95+0], v[vgprValuB_X1_I0+0+0+0+1], v[vgprValuA_X1_I0+10+0+0], a[92:95]
 // Ci += Ar*Bi
/*  mfmaIndex:116  */
/* localReadsVacancy: latencyLeft 5 */
v_mfma_f32_16x16x4_f32 a[56+0:59+0], v[vgprValuB_X1_I0+2+0+0], v[vgprValuA_X1_I0+10+0+0], a[56:59]
 // Cr += Ar*Br
/*  mfmaIndex:117  */
/* localReadsVacancy: latencyLeft 5 */
v_mfma_f32_16x16x4_f32 a[128+0:131+0], v[vgprValuB_X1_I0+2+0+0], v[vgprValuA_X1_I0+10+0+0+1], a[128:131]
 // Ci += Ai*Br
/*  mfmaIndex:118  */
/* localReadsVacancy: latencyLeft 5 */
v_mfma_f32_16x16x4_f32 a[56+0:59+0], v[vgprValuB_X1_I0+2+0+0+1], v85, a[56:59]
 // Cr += -Ai*Bi
/*  mfmaIndex:119  */
/* localReadsVacancy: latencyLeft 5 */
v_mfma_f32_16x16x4_f32 a[128+0:131+0], v[vgprValuB_X1_I0+2+0+0+1], v[vgprValuA_X1_I0+10+0+0], a[128:131]
 // Ci += Ar*Bi
/*  mfmaIndex:120  */
/* localReadsVacancy: latencyLeft 5 */
v_add_f32 v85, -v[vgprValuA_X1_I0+12+0+0+1], 0     // Ai=-Ai
v_mfma_f32_16x16x4_f32 a[24+0:27+0], v[vgprValuB_X1_I0+0+0+0], v[vgprValuA_X1_I0+12+0+0], a[24:27]
 // Cr += Ar*Br
/*  mfmaIndex:121  */
/* localReadsVacancy: latencyLeft 5 */
v_mfma_f32_16x16x4_f32 a[96+0:99+0], v[vgprValuB_X1_I0+0+0+0], v[vgprValuA_X1_I0+12+0+0+1], a[96:99]
 // Ci += Ai*Br
/*  mfmaIndex:122  */
/* localReadsVacancy: latencyLeft 5 */
v_mfma_f32_16x16x4_f32 a[24+0:27+0], v[vgprValuB_X1_I0+0+0+0+1], v85, a[24:27]
 // Cr += -Ai*Bi
/*  mfmaIndex:123  */
/* localReadsVacancy: latencyLeft 5 */
v_mfma_f32_16x16x4_f32 a[96+0:99+0], v[vgprValuB_X1_I0+0+0+0+1], v[vgprValuA_X1_I0+12+0+0], a[96:99]
 // Ci += Ar*Bi
/*  mfmaIndex:124  */
/* localReadsVacancy: latencyLeft 5 */
v_mfma_f32_16x16x4_f32 a[60+0:63+0], v[vgprValuB_X1_I0+2+0+0], v[vgprValuA_X1_I0+12+0+0], a[60:63]
 // Cr += Ar*Br
/*  mfmaIndex:125  */
	;; [unrolled: 33-line block ×4, first 2 shown]
/* localReadsVacancy: latencyLeft 5 */
v_mfma_f32_16x16x4_f32 a[140+0:143+0], v[vgprValuB_X1_I0+2+0+0], v[vgprValuA_X1_I0+16+0+0+1], a[140:143]
 // Ci += Ai*Br
/*  mfmaIndex:142  */
/* localReadsVacancy: latencyLeft 5 */
v_mfma_f32_16x16x4_f32 a[68+0:71+0], v[vgprValuB_X1_I0+2+0+0+1], v85, a[68:71]
 // Cr += -Ai*Bi
/*  mfmaIndex:143  */
/* localReadsVacancy: latencyLeft 5 */
v_mfma_f32_16x16x4_f32 a[140+0:143+0], v[vgprValuB_X1_I0+2+0+0+1], v[vgprValuA_X1_I0+16+0+0], a[140:143]
 // Ci += Ar*Bi
/* numPrefetchIter=0 */
/* dataAtIterA=0 numReadsIterA=2 skipReadsIterA=1 readsPerIterA=9 */
/* dataAtIterB=0 numReadsIterB=2 skipReadsIterB=1 readsPerIterB=2 */


/* iter 2 (last unrolled loop) */

/*  grEndMfmaIndex:0, lwStartMfmaIndex:277, lwEndMfmaIndex:277  */
/*  numMfmaForLR:8, barrierMfmaIndex:279, LocalWritePerMfma:0.100 */
/*  mfmaIndex:144  */
_ds_load_b64 v[vgprValuA_X1_I0+0:vgprValuA_X1_I0+0+1], v[vgprLocalReadAddrA] offset:96 // L -> Reg lro=12 swapByteOffset=0 ti=16 vIdx=0 rIdx=0 oIdx=0 buffer=1 iui=0
_ds_load_b64 v[vgprValuB_X1_I0+0:vgprValuB_X1_I0+0+1], v[vgprLocalReadAddrB] offset:96 // L -> Reg lro=12 swapByteOffset=0 ti=64 vIdx=0 rIdx=0 oIdx=0 buffer=1 iui=0
s_waitcnt lgkmcnt(2)                               // lgkmcnt=0 vmcnt=-1wait for prior local read local write old=0, new=2 newLW=0 newLR=2
v_add_f32 v85, -v[vgprValuA_X0_I0+0+0+0+1], 0      // Ai=-Ai
v_mfma_f32_16x16x4_f32 a[0+0:3+0], v[vgprValuB_X0_I0+0+0+0], v[vgprValuA_X0_I0+0+0+0], a[0:3]
 // Cr += Ar*Br
/*  mfmaIndex:145  */
_ds_load_b64 v[vgprValuA_X1_I0+2:vgprValuA_X1_I0+2+1], v[vgprLocalReadAddrA] offset:2272 // L -> Reg lro=12 swapByteOffset=0 ti=16 vIdx=1 rIdx=0 oIdx=0 buffer=1 iui=0
_ds_load_b64 v[vgprValuA_X1_I0+4:vgprValuA_X1_I0+4+1], v[vgprLocalReadAddrA] offset:4448 // L -> Reg lro=12 swapByteOffset=0 ti=16 vIdx=2 rIdx=0 oIdx=0 buffer=1 iui=0
v_mfma_f32_16x16x4_f32 a[72+0:75+0], v[vgprValuB_X0_I0+0+0+0], v[vgprValuA_X0_I0+0+0+0+1], a[72:75]
 // Ci += Ai*Br
/*  mfmaIndex:146  */
_ds_load_b64 v[vgprValuA_X1_I0+6:vgprValuA_X1_I0+6+1], v[vgprLocalReadAddrA] offset:6624 // L -> Reg lro=12 swapByteOffset=0 ti=16 vIdx=3 rIdx=0 oIdx=0 buffer=1 iui=0
_ds_load_b64 v[vgprValuA_X1_I0+8:vgprValuA_X1_I0+8+1], v[vgprLocalReadAddrA] offset:8800 // L -> Reg lro=12 swapByteOffset=0 ti=16 vIdx=4 rIdx=0 oIdx=0 buffer=1 iui=0
v_mfma_f32_16x16x4_f32 a[0+0:3+0], v[vgprValuB_X0_I0+0+0+0+1], v85, a[0:3]
 // Cr += -Ai*Bi
/*  mfmaIndex:147  */
_ds_load_b64 v[vgprValuA_X1_I0+10:vgprValuA_X1_I0+10+1], v[vgprLocalReadAddrA] offset:10976 // L -> Reg lro=12 swapByteOffset=0 ti=16 vIdx=5 rIdx=0 oIdx=0 buffer=1 iui=0
_ds_load_b64 v[vgprValuA_X1_I0+12:vgprValuA_X1_I0+12+1], v[vgprLocalReadAddrA] offset:13152 // L -> Reg lro=12 swapByteOffset=0 ti=16 vIdx=6 rIdx=0 oIdx=0 buffer=1 iui=0
v_mfma_f32_16x16x4_f32 a[72+0:75+0], v[vgprValuB_X0_I0+0+0+0+1], v[vgprValuA_X0_I0+0+0+0], a[72:75]
 // Ci += Ar*Bi
/*  mfmaIndex:148  */
_ds_load_b64 v[vgprValuA_X1_I0+14:vgprValuA_X1_I0+14+1], v[vgprLocalReadAddrA] offset:15328 // L -> Reg lro=12 swapByteOffset=0 ti=16 vIdx=7 rIdx=0 oIdx=0 buffer=1 iui=0
_ds_load_b64 v[vgprValuA_X1_I0+16:vgprValuA_X1_I0+16+1], v[vgprLocalReadAddrA] offset:17504 // L -> Reg lro=12 swapByteOffset=0 ti=16 vIdx=8 rIdx=0 oIdx=0 buffer=1 iui=0
v_mfma_f32_16x16x4_f32 a[36+0:39+0], v[vgprValuB_X0_I0+2+0+0], v[vgprValuA_X0_I0+0+0+0], a[36:39]
 // Cr += Ar*Br
/*  mfmaIndex:149  */
_ds_load_b64 v[vgprValuB_X1_I0+2:vgprValuB_X1_I0+2+1], v[vgprLocalReadAddrB] offset:9312 // L -> Reg lro=12 swapByteOffset=0 ti=64 vIdx=1 rIdx=0 oIdx=0 buffer=1 iui=0
/* localReadsVacancy: latencyLeft 3 */
v_mfma_f32_16x16x4_f32 a[108+0:111+0], v[vgprValuB_X0_I0+2+0+0], v[vgprValuA_X0_I0+0+0+0+1], a[108:111]
 // Ci += Ai*Br
/*  mfmaIndex:150  */
/* localReadsVacancy: latencyLeft 5 */
v_mfma_f32_16x16x4_f32 a[36+0:39+0], v[vgprValuB_X0_I0+2+0+0+1], v85, a[36:39]
 // Cr += -Ai*Bi
/*  mfmaIndex:151  */
/* localReadsVacancy: latencyLeft 5 */
v_mfma_f32_16x16x4_f32 a[108+0:111+0], v[vgprValuB_X0_I0+2+0+0+1], v[vgprValuA_X0_I0+0+0+0], a[108:111]
 // Ci += Ar*Bi
/*  mfmaIndex:152  */
/* localReadsVacancy: latencyLeft 5 */
v_add_f32 v85, -v[vgprValuA_X0_I0+2+0+0+1], 0      // Ai=-Ai
v_mfma_f32_16x16x4_f32 a[4+0:7+0], v[vgprValuB_X0_I0+0+0+0], v[vgprValuA_X0_I0+2+0+0], a[4:7]
 // Cr += Ar*Br
/*  mfmaIndex:153  */
/* localReadsVacancy: latencyLeft 5 */
v_mfma_f32_16x16x4_f32 a[76+0:79+0], v[vgprValuB_X0_I0+0+0+0], v[vgprValuA_X0_I0+2+0+0+1], a[76:79]
 // Ci += Ai*Br
/*  mfmaIndex:154  */
/* localReadsVacancy: latencyLeft 5 */
v_mfma_f32_16x16x4_f32 a[4+0:7+0], v[vgprValuB_X0_I0+0+0+0+1], v85, a[4:7]
 // Cr += -Ai*Bi
/*  mfmaIndex:155  */
/* localReadsVacancy: latencyLeft 5 */
v_mfma_f32_16x16x4_f32 a[76+0:79+0], v[vgprValuB_X0_I0+0+0+0+1], v[vgprValuA_X0_I0+2+0+0], a[76:79]
 // Ci += Ar*Bi
/*  mfmaIndex:156  */
/* localReadsVacancy: latencyLeft 5 */
v_mfma_f32_16x16x4_f32 a[40+0:43+0], v[vgprValuB_X0_I0+2+0+0], v[vgprValuA_X0_I0+2+0+0], a[40:43]
 // Cr += Ar*Br
/*  mfmaIndex:157  */
/* localReadsVacancy: latencyLeft 5 */
v_mfma_f32_16x16x4_f32 a[112+0:115+0], v[vgprValuB_X0_I0+2+0+0], v[vgprValuA_X0_I0+2+0+0+1], a[112:115]
 // Ci += Ai*Br
/*  mfmaIndex:158  */
/* localReadsVacancy: latencyLeft 5 */
v_mfma_f32_16x16x4_f32 a[40+0:43+0], v[vgprValuB_X0_I0+2+0+0+1], v85, a[40:43]
 // Cr += -Ai*Bi
/*  mfmaIndex:159  */
/* localReadsVacancy: latencyLeft 5 */
v_mfma_f32_16x16x4_f32 a[112+0:115+0], v[vgprValuB_X0_I0+2+0+0+1], v[vgprValuA_X0_I0+2+0+0], a[112:115]
 // Ci += Ar*Bi
/*  mfmaIndex:160  */
/* localReadsVacancy: latencyLeft 5 */
v_add_f32 v85, -v[vgprValuA_X0_I0+4+0+0+1], 0      // Ai=-Ai
v_mfma_f32_16x16x4_f32 a[8+0:11+0], v[vgprValuB_X0_I0+0+0+0], v[vgprValuA_X0_I0+4+0+0], a[8:11]
 // Cr += Ar*Br
/*  mfmaIndex:161  */
/* localReadsVacancy: latencyLeft 5 */
v_mfma_f32_16x16x4_f32 a[80+0:83+0], v[vgprValuB_X0_I0+0+0+0], v[vgprValuA_X0_I0+4+0+0+1], a[80:83]
 // Ci += Ai*Br
/*  mfmaIndex:162  */
/* localReadsVacancy: latencyLeft 5 */
v_mfma_f32_16x16x4_f32 a[8+0:11+0], v[vgprValuB_X0_I0+0+0+0+1], v85, a[8:11]
 // Cr += -Ai*Bi
/*  mfmaIndex:163  */
/* localReadsVacancy: latencyLeft 5 */
v_mfma_f32_16x16x4_f32 a[80+0:83+0], v[vgprValuB_X0_I0+0+0+0+1], v[vgprValuA_X0_I0+4+0+0], a[80:83]
 // Ci += Ar*Bi
/*  mfmaIndex:164  */
/* localReadsVacancy: latencyLeft 5 */
v_mfma_f32_16x16x4_f32 a[44+0:47+0], v[vgprValuB_X0_I0+2+0+0], v[vgprValuA_X0_I0+4+0+0], a[44:47]
 // Cr += Ar*Br
/*  mfmaIndex:165  */
	;; [unrolled: 33-line block ×4, first 2 shown]
/* localReadsVacancy: latencyLeft 5 */
v_mfma_f32_16x16x4_f32 a[124+0:127+0], v[vgprValuB_X0_I0+2+0+0], v[vgprValuA_X0_I0+8+0+0+1], a[124:127]
 // Ci += Ai*Br
/*  mfmaIndex:182  */
/* localReadsVacancy: latencyLeft 5 */
v_mfma_f32_16x16x4_f32 a[52+0:55+0], v[vgprValuB_X0_I0+2+0+0+1], v85, a[52:55]
 // Cr += -Ai*Bi
/*  mfmaIndex:183  */
/* localReadsVacancy: latencyLeft 5 */
v_mfma_f32_16x16x4_f32 a[124+0:127+0], v[vgprValuB_X0_I0+2+0+0+1], v[vgprValuA_X0_I0+8+0+0], a[124:127]
 // Ci += Ar*Bi
/*  mfmaIndex:184  */
/* localReadsVacancy: latencyLeft 5 */
v_add_f32 v85, -v[vgprValuA_X0_I0+10+0+0+1], 0     // Ai=-Ai
v_mfma_f32_16x16x4_f32 a[20+0:23+0], v[vgprValuB_X0_I0+0+0+0], v[vgprValuA_X0_I0+10+0+0], a[20:23]
 // Cr += Ar*Br
/*  mfmaIndex:185  */
/* localReadsVacancy: latencyLeft 5 */
v_mfma_f32_16x16x4_f32 a[92+0:95+0], v[vgprValuB_X0_I0+0+0+0], v[vgprValuA_X0_I0+10+0+0+1], a[92:95]
 // Ci += Ai*Br
/*  mfmaIndex:186  */
/* localReadsVacancy: latencyLeft 5 */
v_mfma_f32_16x16x4_f32 a[20+0:23+0], v[vgprValuB_X0_I0+0+0+0+1], v85, a[20:23]
 // Cr += -Ai*Bi
/*  mfmaIndex:187  */
/* localReadsVacancy: latencyLeft 5 */
v_mfma_f32_16x16x4_f32 a[92+0:95+0], v[vgprValuB_X0_I0+0+0+0+1], v[vgprValuA_X0_I0+10+0+0], a[92:95]
 // Ci += Ar*Bi
/*  mfmaIndex:188  */
/* localReadsVacancy: latencyLeft 5 */
v_mfma_f32_16x16x4_f32 a[56+0:59+0], v[vgprValuB_X0_I0+2+0+0], v[vgprValuA_X0_I0+10+0+0], a[56:59]
 // Cr += Ar*Br
/*  mfmaIndex:189  */
/* localReadsVacancy: latencyLeft 5 */
v_mfma_f32_16x16x4_f32 a[128+0:131+0], v[vgprValuB_X0_I0+2+0+0], v[vgprValuA_X0_I0+10+0+0+1], a[128:131]
 // Ci += Ai*Br
/*  mfmaIndex:190  */
/* localReadsVacancy: latencyLeft 5 */
v_mfma_f32_16x16x4_f32 a[56+0:59+0], v[vgprValuB_X0_I0+2+0+0+1], v85, a[56:59]
 // Cr += -Ai*Bi
/*  mfmaIndex:191  */
/* localReadsVacancy: latencyLeft 5 */
v_mfma_f32_16x16x4_f32 a[128+0:131+0], v[vgprValuB_X0_I0+2+0+0+1], v[vgprValuA_X0_I0+10+0+0], a[128:131]
 // Ci += Ar*Bi
/*  mfmaIndex:192  */
/* localReadsVacancy: latencyLeft 5 */
v_add_f32 v85, -v[vgprValuA_X0_I0+12+0+0+1], 0     // Ai=-Ai
v_mfma_f32_16x16x4_f32 a[24+0:27+0], v[vgprValuB_X0_I0+0+0+0], v[vgprValuA_X0_I0+12+0+0], a[24:27]
 // Cr += Ar*Br
/*  mfmaIndex:193  */
/* localReadsVacancy: latencyLeft 5 */
v_mfma_f32_16x16x4_f32 a[96+0:99+0], v[vgprValuB_X0_I0+0+0+0], v[vgprValuA_X0_I0+12+0+0+1], a[96:99]
 // Ci += Ai*Br
/*  mfmaIndex:194  */
/* localReadsVacancy: latencyLeft 5 */
v_mfma_f32_16x16x4_f32 a[24+0:27+0], v[vgprValuB_X0_I0+0+0+0+1], v85, a[24:27]
 // Cr += -Ai*Bi
/*  mfmaIndex:195  */
/* localReadsVacancy: latencyLeft 5 */
v_mfma_f32_16x16x4_f32 a[96+0:99+0], v[vgprValuB_X0_I0+0+0+0+1], v[vgprValuA_X0_I0+12+0+0], a[96:99]
 // Ci += Ar*Bi
/*  mfmaIndex:196  */
/* localReadsVacancy: latencyLeft 5 */
v_mfma_f32_16x16x4_f32 a[60+0:63+0], v[vgprValuB_X0_I0+2+0+0], v[vgprValuA_X0_I0+12+0+0], a[60:63]
 // Cr += Ar*Br
/*  mfmaIndex:197  */
	;; [unrolled: 33-line block ×4, first 2 shown]
/* localReadsVacancy: latencyLeft 5 */
v_mfma_f32_16x16x4_f32 a[140+0:143+0], v[vgprValuB_X0_I0+2+0+0], v[vgprValuA_X0_I0+16+0+0+1], a[140:143]
 // Ci += Ai*Br
/*  mfmaIndex:214  */
/* localReadsVacancy: latencyLeft 5 */
v_mfma_f32_16x16x4_f32 a[68+0:71+0], v[vgprValuB_X0_I0+2+0+0+1], v85, a[68:71]
 // Cr += -Ai*Bi
/*  mfmaIndex:215  */
/* localReadsVacancy: latencyLeft 5 */
v_mfma_f32_16x16x4_f32 a[140+0:143+0], v[vgprValuB_X0_I0+2+0+0+1], v[vgprValuA_X0_I0+16+0+0], a[140:143]
 // Ci += Ar*Bi
/* numPrefetchIter=0 */
/* dataAtIterA=1 numReadsIterA=3 skipReadsIterA=1 readsPerIterA=9 */
/* dataAtIterB=1 numReadsIterB=3 skipReadsIterB=1 readsPerIterB=2 */


/* iter 3 (last unrolled loop) */

/*  grEndMfmaIndex:0, lwStartMfmaIndex:277, lwEndMfmaIndex:277  */
/*  numMfmaForLR:8, barrierMfmaIndex:279, LocalWritePerMfma:0.100 */
/*  mfmaIndex:216  */
s_waitcnt lgkmcnt(0)                               // lgkmcnt=0 vmcnt=-1wait for prior local read local write old=0, new=0 newLW=0 newLR=0
v_add_f32 v85, -v[vgprValuA_X1_I0+0+0+0+1], 0      // Ai=-Ai
v_mfma_f32_16x16x4_f32 a[0+0:3+0], v[vgprValuB_X1_I0+0+0+0], v[vgprValuA_X1_I0+0+0+0], a[0:3]
 // Cr += Ar*Br
/*  mfmaIndex:217  */
v_mfma_f32_16x16x4_f32 a[72+0:75+0], v[vgprValuB_X1_I0+0+0+0], v[vgprValuA_X1_I0+0+0+0+1], a[72:75]
 // Ci += Ai*Br
/*  mfmaIndex:218  */
v_mfma_f32_16x16x4_f32 a[0+0:3+0], v[vgprValuB_X1_I0+0+0+0+1], v85, a[0:3]
 // Cr += -Ai*Bi
/*  mfmaIndex:219  */
v_mfma_f32_16x16x4_f32 a[72+0:75+0], v[vgprValuB_X1_I0+0+0+0+1], v[vgprValuA_X1_I0+0+0+0], a[72:75]
 // Ci += Ar*Bi
/*  mfmaIndex:220  */
v_mfma_f32_16x16x4_f32 a[36+0:39+0], v[vgprValuB_X1_I0+2+0+0], v[vgprValuA_X1_I0+0+0+0], a[36:39]
 // Cr += Ar*Br
/*  mfmaIndex:221  */
v_mfma_f32_16x16x4_f32 a[108+0:111+0], v[vgprValuB_X1_I0+2+0+0], v[vgprValuA_X1_I0+0+0+0+1], a[108:111]
 // Ci += Ai*Br
/*  mfmaIndex:222  */
v_mfma_f32_16x16x4_f32 a[36+0:39+0], v[vgprValuB_X1_I0+2+0+0+1], v85, a[36:39]
 // Cr += -Ai*Bi
/*  mfmaIndex:223  */
v_mfma_f32_16x16x4_f32 a[108+0:111+0], v[vgprValuB_X1_I0+2+0+0+1], v[vgprValuA_X1_I0+0+0+0], a[108:111]
 // Ci += Ar*Bi
/*  mfmaIndex:224  */
v_add_f32 v85, -v[vgprValuA_X1_I0+2+0+0+1], 0      // Ai=-Ai
v_mfma_f32_16x16x4_f32 a[4+0:7+0], v[vgprValuB_X1_I0+0+0+0], v[vgprValuA_X1_I0+2+0+0], a[4:7]
 // Cr += Ar*Br
/*  mfmaIndex:225  */
v_mfma_f32_16x16x4_f32 a[76+0:79+0], v[vgprValuB_X1_I0+0+0+0], v[vgprValuA_X1_I0+2+0+0+1], a[76:79]
 // Ci += Ai*Br
/*  mfmaIndex:226  */
v_mfma_f32_16x16x4_f32 a[4+0:7+0], v[vgprValuB_X1_I0+0+0+0+1], v85, a[4:7]
 // Cr += -Ai*Bi
/*  mfmaIndex:227  */
v_mfma_f32_16x16x4_f32 a[76+0:79+0], v[vgprValuB_X1_I0+0+0+0+1], v[vgprValuA_X1_I0+2+0+0], a[76:79]
 // Ci += Ar*Bi
/*  mfmaIndex:228  */
v_mfma_f32_16x16x4_f32 a[40+0:43+0], v[vgprValuB_X1_I0+2+0+0], v[vgprValuA_X1_I0+2+0+0], a[40:43]
 // Cr += Ar*Br
/*  mfmaIndex:229  */
v_mfma_f32_16x16x4_f32 a[112+0:115+0], v[vgprValuB_X1_I0+2+0+0], v[vgprValuA_X1_I0+2+0+0+1], a[112:115]
 // Ci += Ai*Br
/*  mfmaIndex:230  */
v_mfma_f32_16x16x4_f32 a[40+0:43+0], v[vgprValuB_X1_I0+2+0+0+1], v85, a[40:43]
 // Cr += -Ai*Bi
/*  mfmaIndex:231  */
v_mfma_f32_16x16x4_f32 a[112+0:115+0], v[vgprValuB_X1_I0+2+0+0+1], v[vgprValuA_X1_I0+2+0+0], a[112:115]
 // Ci += Ar*Bi
/*  mfmaIndex:232  */
	;; [unrolled: 25-line block ×5, first 2 shown]
v_add_f32 v85, -v[vgprValuA_X1_I0+10+0+0+1], 0     // Ai=-Ai
v_mfma_f32_16x16x4_f32 a[20+0:23+0], v[vgprValuB_X1_I0+0+0+0], v[vgprValuA_X1_I0+10+0+0], a[20:23]
 // Cr += Ar*Br
/*  mfmaIndex:257  */
v_mfma_f32_16x16x4_f32 a[92+0:95+0], v[vgprValuB_X1_I0+0+0+0], v[vgprValuA_X1_I0+10+0+0+1], a[92:95]
 // Ci += Ai*Br
/*  mfmaIndex:258  */
v_mfma_f32_16x16x4_f32 a[20+0:23+0], v[vgprValuB_X1_I0+0+0+0+1], v85, a[20:23]
 // Cr += -Ai*Bi
/*  mfmaIndex:259  */
v_mfma_f32_16x16x4_f32 a[92+0:95+0], v[vgprValuB_X1_I0+0+0+0+1], v[vgprValuA_X1_I0+10+0+0], a[92:95]
 // Ci += Ar*Bi
/*  mfmaIndex:260  */
v_mfma_f32_16x16x4_f32 a[56+0:59+0], v[vgprValuB_X1_I0+2+0+0], v[vgprValuA_X1_I0+10+0+0], a[56:59]
 // Cr += Ar*Br
/*  mfmaIndex:261  */
v_mfma_f32_16x16x4_f32 a[128+0:131+0], v[vgprValuB_X1_I0+2+0+0], v[vgprValuA_X1_I0+10+0+0+1], a[128:131]
 // Ci += Ai*Br
/*  mfmaIndex:262  */
v_mfma_f32_16x16x4_f32 a[56+0:59+0], v[vgprValuB_X1_I0+2+0+0+1], v85, a[56:59]
 // Cr += -Ai*Bi
/*  mfmaIndex:263  */
v_mfma_f32_16x16x4_f32 a[128+0:131+0], v[vgprValuB_X1_I0+2+0+0+1], v[vgprValuA_X1_I0+10+0+0], a[128:131]
 // Ci += Ar*Bi
/*  mfmaIndex:264  */
v_add_f32 v85, -v[vgprValuA_X1_I0+12+0+0+1], 0     // Ai=-Ai
v_mfma_f32_16x16x4_f32 a[24+0:27+0], v[vgprValuB_X1_I0+0+0+0], v[vgprValuA_X1_I0+12+0+0], a[24:27]
 // Cr += Ar*Br
/*  mfmaIndex:265  */
v_mfma_f32_16x16x4_f32 a[96+0:99+0], v[vgprValuB_X1_I0+0+0+0], v[vgprValuA_X1_I0+12+0+0+1], a[96:99]
 // Ci += Ai*Br
/*  mfmaIndex:266  */
v_mfma_f32_16x16x4_f32 a[24+0:27+0], v[vgprValuB_X1_I0+0+0+0+1], v85, a[24:27]
 // Cr += -Ai*Bi
/*  mfmaIndex:267  */
v_mfma_f32_16x16x4_f32 a[96+0:99+0], v[vgprValuB_X1_I0+0+0+0+1], v[vgprValuA_X1_I0+12+0+0], a[96:99]
 // Ci += Ar*Bi
/*  mfmaIndex:268  */
v_mfma_f32_16x16x4_f32 a[60+0:63+0], v[vgprValuB_X1_I0+2+0+0], v[vgprValuA_X1_I0+12+0+0], a[60:63]
 // Cr += Ar*Br
/*  mfmaIndex:269  */
v_mfma_f32_16x16x4_f32 a[132+0:135+0], v[vgprValuB_X1_I0+2+0+0], v[vgprValuA_X1_I0+12+0+0+1], a[132:135]
 // Ci += Ai*Br
/*  mfmaIndex:270  */
v_mfma_f32_16x16x4_f32 a[60+0:63+0], v[vgprValuB_X1_I0+2+0+0+1], v85, a[60:63]
 // Cr += -Ai*Bi
/*  mfmaIndex:271  */
v_mfma_f32_16x16x4_f32 a[132+0:135+0], v[vgprValuB_X1_I0+2+0+0+1], v[vgprValuA_X1_I0+12+0+0], a[132:135]
 // Ci += Ar*Bi
/*  mfmaIndex:272  */
v_add_f32 v85, -v[vgprValuA_X1_I0+14+0+0+1], 0     // Ai=-Ai
v_mfma_f32_16x16x4_f32 a[28+0:31+0], v[vgprValuB_X1_I0+0+0+0], v[vgprValuA_X1_I0+14+0+0], a[28:31]
 // Cr += Ar*Br
/*  mfmaIndex:273  */
v_mfma_f32_16x16x4_f32 a[100+0:103+0], v[vgprValuB_X1_I0+0+0+0], v[vgprValuA_X1_I0+14+0+0+1], a[100:103]
 // Ci += Ai*Br
/*  mfmaIndex:274  */
v_mfma_f32_16x16x4_f32 a[28+0:31+0], v[vgprValuB_X1_I0+0+0+0+1], v85, a[28:31]
 // Cr += -Ai*Bi
/*  mfmaIndex:275  */
v_mfma_f32_16x16x4_f32 a[100+0:103+0], v[vgprValuB_X1_I0+0+0+0+1], v[vgprValuA_X1_I0+14+0+0], a[100:103]
 // Ci += Ar*Bi
/*  mfmaIndex:276  */
/* 1 LDS buffer: read-sync-write */
s_waitcnt lgkmcnt(0)                               // 
s_barrier                                          // 
v_mfma_f32_16x16x4_f32 a[64+0:67+0], v[vgprValuB_X1_I0+2+0+0], v[vgprValuA_X1_I0+14+0+0], a[64:67]
 // Cr += Ar*Br
/*  mfmaIndex:277  */
s_setprio 3                                        // store optimization
v_mfma_f32_16x16x4_f32 a[136+0:139+0], v[vgprValuB_X1_I0+2+0+0], v[vgprValuA_X1_I0+14+0+0+1], a[136:139]
 // Ci += Ai*Br
/*  mfmaIndex:278  */
v_mfma_f32_16x16x4_f32 a[64+0:67+0], v[vgprValuB_X1_I0+2+0+0+1], v85, a[64:67]
 // Cr += -Ai*Bi
s_setprio 0                                        // store optimization
/*  mfmaIndex:279  */
v_mfma_f32_16x16x4_f32 a[136+0:139+0], v[vgprValuB_X1_I0+2+0+0+1], v[vgprValuA_X1_I0+14+0+0], a[136:139]
 // Ci += Ar*Bi
/*  mfmaIndex:280  */
s_setprio 3                                        // store optimization
v_add_f32 v85, -v[vgprValuA_X1_I0+16+0+0+1], 0     // Ai=-Ai
v_mfma_f32_16x16x4_f32 a[32+0:35+0], v[vgprValuB_X1_I0+0+0+0], v[vgprValuA_X1_I0+16+0+0], a[32:35]
 // Cr += Ar*Br
/*  mfmaIndex:281  */
v_mfma_f32_16x16x4_f32 a[104+0:107+0], v[vgprValuB_X1_I0+0+0+0], v[vgprValuA_X1_I0+16+0+0+1], a[104:107]
 // Ci += Ai*Br
/*  mfmaIndex:282  */
v_mfma_f32_16x16x4_f32 a[32+0:35+0], v[vgprValuB_X1_I0+0+0+0+1], v85, a[32:35]
 // Cr += -Ai*Bi
/*  mfmaIndex:283  */
v_mfma_f32_16x16x4_f32 a[104+0:107+0], v[vgprValuB_X1_I0+0+0+0+1], v[vgprValuA_X1_I0+16+0+0], a[104:107]
 // Ci += Ar*Bi
/*  mfmaIndex:284  */
v_mfma_f32_16x16x4_f32 a[68+0:71+0], v[vgprValuB_X1_I0+2+0+0], v[vgprValuA_X1_I0+16+0+0], a[68:71]
 // Cr += Ar*Br
/*  mfmaIndex:285  */
v_mfma_f32_16x16x4_f32 a[140+0:143+0], v[vgprValuB_X1_I0+2+0+0], v[vgprValuA_X1_I0+16+0+0+1], a[140:143]
 // Ci += Ai*Br
/*  mfmaIndex:286  */
v_mfma_f32_16x16x4_f32 a[68+0:71+0], v[vgprValuB_X1_I0+2+0+0+1], v85, a[68:71]
 // Cr += -Ai*Bi
/*  mfmaIndex:287  */
v_mfma_f32_16x16x4_f32 a[140+0:143+0], v[vgprValuB_X1_I0+2+0+0+1], v[vgprValuA_X1_I0+16+0+0], a[140:143]
 // Ci += Ar*Bi
/* numPrefetchIter=0 */
/* dataAtIterA=2 numReadsIterA=3 skipReadsIterA=0 readsPerIterA=9 */
/* dataAtIterB=2 numReadsIterB=3 skipReadsIterB=0 readsPerIterB=2 */

/* Stores for OptNLL */
Summation_End_OptNLL_18:
s_setprio 0                                        // optimization store
/* endSummation: add vgpr [0...82) to pool */
.set NumFullBlocks, UNDEF
.set WgmRemainder1, UNDEF
.set MagicNumberWgmRemainder1, UNDEF
.set ScalarGlobalReadOffsetA, UNDEF
.set ScalarGlobalReadOffsetB, UNDEF

/* Mapping of Acc register -> C Vgpr register */
/* computeStoreVgprs */
v_lshrrev_b32 v4, 6, v[vgprSerial]                 // v4 = v[vgprSerial] / 64
v_and_b32 v1, 63, v[vgprSerial]                    // v1 = v[vgprSerial] % 64
v_lshrrev_b32 v1, 4, v1                            // v1 = v1 / 16
v_lshlrev_b32 v1, 0x2, v1                          // thread0 * continuous_output
v_lshrrev_b32 v5, 0, v4                            // v5 = v4 / 1
v_mul_lo_u32 v5, 0x10, v5                          // wave coordination offset 1
_v_add_lshl_u32 v1, v5, v1, 0                      // coordination 1 = vwb *(wave_id1 + tid1)
v_mul_lo_u32 v2, v1, s[sgprStrideC1J]              //  offset 1
v_mul_lo_u32 v3, v1, s[sgprStrideD1J]              //  offset 1
v_and_b32 v5, 0, v4                                // v5 = v4 % 1
v_and_b32 v0, 15, v[vgprSerial]                    // v0 = v[vgprSerial] % 16
_v_add_lshl_u32 v0, v5, v0, 0                      // coordination 0 = vwa *(wave_id0 + tid0)
s_mul_i32 s55, 144, s[sgprWorkGroup0]              // wgp0 * MT0
_v_add_u32 v0, s55, v0                             // coord 0 = (tid0/MI_m)*4 + waveG0*MIB_m + MT0*SG0
s_mul_i32 s55, 128, s[sgprWorkGroup1]              // wgp1 * MT1
_v_add_u32 v1, s55, v1                             // coord 1 = (tid0%MI_m) + waveG1*MIB_n + MT1*SG1
GW_B0_E0_21:

/* edge=0, allocate 2 sgpr. perBatchTmpS=2 perBatchMaskS=0 perElementMaskS=0 elementsPerBatch=4 */
/* optSingleColVgpr=1 optSharedColVgpr=0 optSGPRUsage=BufferLoad_Mask optSrdIncForRow=1 */
s_sleep 3 // optimization: sync and wait
s_barrier

/******************************************/
/* Global Write Batch #0 (d1,d0,vc1,vc0) = */
/*    (0,0,0,0:vw1); (0,1,0,0:vw1); (0,2,0,0:vw1); (0,3,0,0:vw1) */
/******************************************/

/* calc coords, apply mask, and issue loads (if necessary) */
/* (d1,vc1,d0,vc0)=(0,0,0,0) */
/* (d1,vc1,d0,vc0)=(0,0,1,0) */
/* (d1,vc1,d0,vc0)=(0,0,2,0) */
/* (d1,vc1,d0,vc0)=(0,0,3,0) */
_v_add_lshl_u32 v6, v3, v0, 0x3                    // optSingleColVgpr scaleToBpe: sharedAddrVgpr <- cinRowPtr + coord0, scaled by BPE. BSHERE:coord0=0, coord0Vgpr=0
v_accvgpr_read_b32 v[vgprValuC+8], acc0 // copy acc to vreg[0]
v_accvgpr_read_b32 v[vgprValuC+9], acc72 // copy acc to vreg[1]
v_accvgpr_read_b32 v[vgprValuC+10], acc4 // copy acc to vreg[2]
v_accvgpr_read_b32 v[vgprValuC+11], acc76 // copy acc to vreg[3]
v_accvgpr_read_b32 v[vgprValuC+12], acc8 // copy acc to vreg[4]
v_accvgpr_read_b32 v[vgprValuC+13], acc80 // copy acc to vreg[5]
v_accvgpr_read_b32 v[vgprValuC+14], acc12 // copy acc to vreg[6]
v_accvgpr_read_b32 v[vgprValuC+15], acc84 // copy acc to vreg[7]
s_nop 1                                            // 2 wait states required before reading vgpr

/* apply mask, calc new C and issue writes */
_buffer_store_b64 v[8:9], v6, s[sgprSrdD:sgprSrdD+3], 0, offen, offset:0,  nt // store D
_buffer_store_b64 v[10:11], v6, s[sgprSrdD:sgprSrdD+3], 0, offen, offset:128,  nt // store D
_buffer_store_b64 v[12:13], v6, s[sgprSrdD:sgprSrdD+3], 0, offen, offset:256,  nt // store D
_buffer_store_b64 v[14:15], v6, s[sgprSrdD:sgprSrdD+3], 0, offen, offset:384,  nt // store D
s_nop 0                                            // 1 wait state required when next inst writes vgprs held by previous dwordx4 store inst
/* optSingleColVgpr=1 optSharedColVgpr=0 optSGPRUsage=BufferLoad_Mask optSrdIncForRow=1 */
s_sleep 3 // optimization: sync and wait
s_barrier

/******************************************/
/* Global Write Batch #1 (d1,d0,vc1,vc0) = */
/*    (0,4,0,0:vw1); (0,5,0,0:vw1); (0,6,0,0:vw1); (0,7,0,0:vw1) */
/******************************************/

/* calc coords, apply mask, and issue loads (if necessary) */
/* (d1,vc1,d0,vc0)=(0,0,4,0) */
/* (d1,vc1,d0,vc0)=(0,0,5,0) */
	;; [unrolled: 1-line block ×4, first 2 shown]
v_accvgpr_read_b32 v[vgprValuC+8], acc16 // copy acc to vreg[8]
v_accvgpr_read_b32 v[vgprValuC+9], acc88 // copy acc to vreg[9]
v_accvgpr_read_b32 v[vgprValuC+10], acc20 // copy acc to vreg[10]
v_accvgpr_read_b32 v[vgprValuC+11], acc92 // copy acc to vreg[11]
v_accvgpr_read_b32 v[vgprValuC+12], acc24 // copy acc to vreg[12]
v_accvgpr_read_b32 v[vgprValuC+13], acc96 // copy acc to vreg[13]
v_accvgpr_read_b32 v[vgprValuC+14], acc28 // copy acc to vreg[14]
v_accvgpr_read_b32 v[vgprValuC+15], acc100 // copy acc to vreg[15]
s_nop 1                                            // 2 wait states required before reading vgpr

/* apply mask, calc new C and issue writes */
_buffer_store_b64 v[8:9], v6, s[sgprSrdD:sgprSrdD+3], 0, offen, offset:512,  nt // store D
_buffer_store_b64 v[10:11], v6, s[sgprSrdD:sgprSrdD+3], 0, offen, offset:640,  nt // store D
	;; [unrolled: 1-line block ×4, first 2 shown]
s_nop 0                                            // 1 wait state required when next inst writes vgprs held by previous dwordx4 store inst
/* optSingleColVgpr=1 optSharedColVgpr=0 optSGPRUsage=BufferLoad_Mask optSrdIncForRow=1 */
s_sleep 3 // optimization: sync and wait
s_barrier

/******************************************/
/* Global Write Batch #2 (d1,d0,vc1,vc0) = */
/*    (0,8,0,0:vw1); (0,0,1,0:vw1); (0,1,1,0:vw1); (0,2,1,0:vw1) */
/******************************************/

/* calc coords, apply mask, and issue loads (if necessary) */
/* (d1,vc1,d0,vc0)=(0,0,8,0) */
/* (d1,vc1,d0,vc0)=(0,1,0,0) */
	;; [unrolled: 1-line block ×4, first 2 shown]
v_accvgpr_read_b32 v[vgprValuC+8], acc32 // copy acc to vreg[16]
v_accvgpr_read_b32 v[vgprValuC+9], acc104 // copy acc to vreg[17]
v_accvgpr_read_b32 v[vgprValuC+10], acc1 // copy acc to vreg[18]
v_accvgpr_read_b32 v[vgprValuC+11], acc73 // copy acc to vreg[19]
v_accvgpr_read_b32 v[vgprValuC+12], acc5 // copy acc to vreg[20]
v_accvgpr_read_b32 v[vgprValuC+13], acc77 // copy acc to vreg[21]
v_accvgpr_read_b32 v[vgprValuC+14], acc9 // copy acc to vreg[22]
v_accvgpr_read_b32 v[vgprValuC+15], acc81 // copy acc to vreg[23]
s_nop 1                                            // 2 wait states required before reading vgpr

/* apply mask, calc new C and issue writes */
_buffer_store_b64 v[8:9], v6, s[sgprSrdD:sgprSrdD+3], 0, offen, offset:1024,  nt // store D
s_lshl_b32  s56, s[sgprStrideD1J], 3               // incToNextRow: Scale by BPE
s_add_u32  s[sgprSrdD+0], s[sgprSrdD+0], s56       // incToNextRow: gra SRD += inc(lower)
s_addc_u32  s[sgprSrdD+1], s[sgprSrdD+1], 0        // incToNextRow: gra SRD += inc(upper)
_buffer_store_b64 v[10:11], v6, s[sgprSrdD:sgprSrdD+3], 0, offen, offset:0,  nt // store D
_buffer_store_b64 v[12:13], v6, s[sgprSrdD:sgprSrdD+3], 0, offen, offset:128,  nt // store D
	;; [unrolled: 1-line block ×3, first 2 shown]
s_nop 0                                            // 1 wait state required when next inst writes vgprs held by previous dwordx4 store inst
/* optSingleColVgpr=1 optSharedColVgpr=0 optSGPRUsage=BufferLoad_Mask optSrdIncForRow=1 */
s_sleep 3 // optimization: sync and wait
s_barrier

/******************************************/
/* Global Write Batch #3 (d1,d0,vc1,vc0) = */
/*    (0,3,1,0:vw1); (0,4,1,0:vw1); (0,5,1,0:vw1); (0,6,1,0:vw1) */
/******************************************/

/* calc coords, apply mask, and issue loads (if necessary) */
/* (d1,vc1,d0,vc0)=(0,1,3,0) */
/* (d1,vc1,d0,vc0)=(0,1,4,0) */
	;; [unrolled: 1-line block ×4, first 2 shown]
v_accvgpr_read_b32 v[vgprValuC+8], acc13 // copy acc to vreg[24]
v_accvgpr_read_b32 v[vgprValuC+9], acc85 // copy acc to vreg[25]
v_accvgpr_read_b32 v[vgprValuC+10], acc17 // copy acc to vreg[26]
v_accvgpr_read_b32 v[vgprValuC+11], acc89 // copy acc to vreg[27]
v_accvgpr_read_b32 v[vgprValuC+12], acc21 // copy acc to vreg[28]
v_accvgpr_read_b32 v[vgprValuC+13], acc93 // copy acc to vreg[29]
v_accvgpr_read_b32 v[vgprValuC+14], acc25 // copy acc to vreg[30]
v_accvgpr_read_b32 v[vgprValuC+15], acc97 // copy acc to vreg[31]
s_nop 1                                            // 2 wait states required before reading vgpr

/* apply mask, calc new C and issue writes */
_buffer_store_b64 v[8:9], v6, s[sgprSrdD:sgprSrdD+3], 0, offen, offset:384,  nt // store D
_buffer_store_b64 v[10:11], v6, s[sgprSrdD:sgprSrdD+3], 0, offen, offset:512,  nt // store D
	;; [unrolled: 1-line block ×4, first 2 shown]
s_nop 0                                            // 1 wait state required when next inst writes vgprs held by previous dwordx4 store inst
/* optSingleColVgpr=1 optSharedColVgpr=0 optSGPRUsage=BufferLoad_Mask optSrdIncForRow=1 */
s_sleep 3 // optimization: sync and wait
s_barrier

/******************************************/
/* Global Write Batch #4 (d1,d0,vc1,vc0) = */
/*    (0,7,1,0:vw1); (0,8,1,0:vw1); (0,0,2,0:vw1); (0,1,2,0:vw1) */
/******************************************/

/* calc coords, apply mask, and issue loads (if necessary) */
/* (d1,vc1,d0,vc0)=(0,1,7,0) */
/* (d1,vc1,d0,vc0)=(0,1,8,0) */
	;; [unrolled: 1-line block ×4, first 2 shown]
v_accvgpr_read_b32 v[vgprValuC+8], acc29 // copy acc to vreg[32]
v_accvgpr_read_b32 v[vgprValuC+9], acc101 // copy acc to vreg[33]
v_accvgpr_read_b32 v[vgprValuC+10], acc33 // copy acc to vreg[34]
v_accvgpr_read_b32 v[vgprValuC+11], acc105 // copy acc to vreg[35]
v_accvgpr_read_b32 v[vgprValuC+12], acc2 // copy acc to vreg[36]
v_accvgpr_read_b32 v[vgprValuC+13], acc74 // copy acc to vreg[37]
v_accvgpr_read_b32 v[vgprValuC+14], acc6 // copy acc to vreg[38]
v_accvgpr_read_b32 v[vgprValuC+15], acc78 // copy acc to vreg[39]
s_nop 1                                            // 2 wait states required before reading vgpr

/* apply mask, calc new C and issue writes */
_buffer_store_b64 v[8:9], v6, s[sgprSrdD:sgprSrdD+3], 0, offen, offset:896,  nt // store D
_buffer_store_b64 v[10:11], v6, s[sgprSrdD:sgprSrdD+3], 0, offen, offset:1024,  nt // store D
s_lshl_b32  s56, s[sgprStrideD1J], 3               // incToNextRow: Scale by BPE
s_add_u32  s[sgprSrdD+0], s[sgprSrdD+0], s56       // incToNextRow: gra SRD += inc(lower)
s_addc_u32  s[sgprSrdD+1], s[sgprSrdD+1], 0        // incToNextRow: gra SRD += inc(upper)
_buffer_store_b64 v[12:13], v6, s[sgprSrdD:sgprSrdD+3], 0, offen, offset:0,  nt // store D
_buffer_store_b64 v[14:15], v6, s[sgprSrdD:sgprSrdD+3], 0, offen, offset:128,  nt // store D
s_nop 0                                            // 1 wait state required when next inst writes vgprs held by previous dwordx4 store inst
/* optSingleColVgpr=1 optSharedColVgpr=0 optSGPRUsage=BufferLoad_Mask optSrdIncForRow=1 */
s_sleep 3 // optimization: sync and wait
s_barrier

/******************************************/
/* Global Write Batch #5 (d1,d0,vc1,vc0) = */
/*    (0,2,2,0:vw1); (0,3,2,0:vw1); (0,4,2,0:vw1); (0,5,2,0:vw1) */
/******************************************/

/* calc coords, apply mask, and issue loads (if necessary) */
/* (d1,vc1,d0,vc0)=(0,2,2,0) */
/* (d1,vc1,d0,vc0)=(0,2,3,0) */
	;; [unrolled: 1-line block ×4, first 2 shown]
v_accvgpr_read_b32 v[vgprValuC+8], acc10 // copy acc to vreg[40]
v_accvgpr_read_b32 v[vgprValuC+9], acc82 // copy acc to vreg[41]
v_accvgpr_read_b32 v[vgprValuC+10], acc14 // copy acc to vreg[42]
v_accvgpr_read_b32 v[vgprValuC+11], acc86 // copy acc to vreg[43]
v_accvgpr_read_b32 v[vgprValuC+12], acc18 // copy acc to vreg[44]
v_accvgpr_read_b32 v[vgprValuC+13], acc90 // copy acc to vreg[45]
v_accvgpr_read_b32 v[vgprValuC+14], acc22 // copy acc to vreg[46]
v_accvgpr_read_b32 v[vgprValuC+15], acc94 // copy acc to vreg[47]
s_nop 1                                            // 2 wait states required before reading vgpr

/* apply mask, calc new C and issue writes */
_buffer_store_b64 v[8:9], v6, s[sgprSrdD:sgprSrdD+3], 0, offen, offset:256,  nt // store D
_buffer_store_b64 v[10:11], v6, s[sgprSrdD:sgprSrdD+3], 0, offen, offset:384,  nt // store D
	;; [unrolled: 1-line block ×4, first 2 shown]
s_nop 0                                            // 1 wait state required when next inst writes vgprs held by previous dwordx4 store inst
/* optSingleColVgpr=1 optSharedColVgpr=0 optSGPRUsage=BufferLoad_Mask optSrdIncForRow=1 */
s_sleep 3 // optimization: sync and wait
s_barrier

/******************************************/
/* Global Write Batch #6 (d1,d0,vc1,vc0) = */
/*    (0,6,2,0:vw1); (0,7,2,0:vw1); (0,8,2,0:vw1); (0,0,3,0:vw1) */
/******************************************/

/* calc coords, apply mask, and issue loads (if necessary) */
/* (d1,vc1,d0,vc0)=(0,2,6,0) */
/* (d1,vc1,d0,vc0)=(0,2,7,0) */
	;; [unrolled: 1-line block ×4, first 2 shown]
v_accvgpr_read_b32 v[vgprValuC+8], acc26 // copy acc to vreg[48]
v_accvgpr_read_b32 v[vgprValuC+9], acc98 // copy acc to vreg[49]
v_accvgpr_read_b32 v[vgprValuC+10], acc30 // copy acc to vreg[50]
v_accvgpr_read_b32 v[vgprValuC+11], acc102 // copy acc to vreg[51]
v_accvgpr_read_b32 v[vgprValuC+12], acc34 // copy acc to vreg[52]
v_accvgpr_read_b32 v[vgprValuC+13], acc106 // copy acc to vreg[53]
v_accvgpr_read_b32 v[vgprValuC+14], acc3 // copy acc to vreg[54]
v_accvgpr_read_b32 v[vgprValuC+15], acc75 // copy acc to vreg[55]
s_nop 1                                            // 2 wait states required before reading vgpr

/* apply mask, calc new C and issue writes */
_buffer_store_b64 v[8:9], v6, s[sgprSrdD:sgprSrdD+3], 0, offen, offset:768,  nt // store D
_buffer_store_b64 v[10:11], v6, s[sgprSrdD:sgprSrdD+3], 0, offen, offset:896,  nt // store D
	;; [unrolled: 1-line block ×3, first 2 shown]
s_lshl_b32  s56, s[sgprStrideD1J], 3               // incToNextRow: Scale by BPE
s_add_u32  s[sgprSrdD+0], s[sgprSrdD+0], s56       // incToNextRow: gra SRD += inc(lower)
s_addc_u32  s[sgprSrdD+1], s[sgprSrdD+1], 0        // incToNextRow: gra SRD += inc(upper)
_buffer_store_b64 v[14:15], v6, s[sgprSrdD:sgprSrdD+3], 0, offen, offset:0,  nt // store D
s_nop 0                                            // 1 wait state required when next inst writes vgprs held by previous dwordx4 store inst
/* optSingleColVgpr=1 optSharedColVgpr=0 optSGPRUsage=BufferLoad_Mask optSrdIncForRow=1 */
s_sleep 3 // optimization: sync and wait
s_barrier

/******************************************/
/* Global Write Batch #7 (d1,d0,vc1,vc0) = */
/*    (0,1,3,0:vw1); (0,2,3,0:vw1); (0,3,3,0:vw1); (0,4,3,0:vw1) */
/******************************************/

/* calc coords, apply mask, and issue loads (if necessary) */
/* (d1,vc1,d0,vc0)=(0,3,1,0) */
/* (d1,vc1,d0,vc0)=(0,3,2,0) */
	;; [unrolled: 1-line block ×4, first 2 shown]
v_accvgpr_read_b32 v[vgprValuC+8], acc7 // copy acc to vreg[56]
v_accvgpr_read_b32 v[vgprValuC+9], acc79 // copy acc to vreg[57]
v_accvgpr_read_b32 v[vgprValuC+10], acc11 // copy acc to vreg[58]
v_accvgpr_read_b32 v[vgprValuC+11], acc83 // copy acc to vreg[59]
v_accvgpr_read_b32 v[vgprValuC+12], acc15 // copy acc to vreg[60]
v_accvgpr_read_b32 v[vgprValuC+13], acc87 // copy acc to vreg[61]
v_accvgpr_read_b32 v[vgprValuC+14], acc19 // copy acc to vreg[62]
v_accvgpr_read_b32 v[vgprValuC+15], acc91 // copy acc to vreg[63]
s_nop 1                                            // 2 wait states required before reading vgpr

/* apply mask, calc new C and issue writes */
_buffer_store_b64 v[8:9], v6, s[sgprSrdD:sgprSrdD+3], 0, offen, offset:128,  nt // store D
_buffer_store_b64 v[10:11], v6, s[sgprSrdD:sgprSrdD+3], 0, offen, offset:256,  nt // store D
	;; [unrolled: 1-line block ×4, first 2 shown]
s_nop 0                                            // 1 wait state required when next inst writes vgprs held by previous dwordx4 store inst
/* optSingleColVgpr=1 optSharedColVgpr=0 optSGPRUsage=BufferLoad_Mask optSrdIncForRow=1 */
s_sleep 3 // optimization: sync and wait
s_barrier

/******************************************/
/* Global Write Batch #8 (d1,d0,vc1,vc0) = */
/*    (0,5,3,0:vw1); (0,6,3,0:vw1); (0,7,3,0:vw1); (0,8,3,0:vw1) */
/******************************************/

/* calc coords, apply mask, and issue loads (if necessary) */
/* (d1,vc1,d0,vc0)=(0,3,5,0) */
/* (d1,vc1,d0,vc0)=(0,3,6,0) */
	;; [unrolled: 1-line block ×4, first 2 shown]
v_accvgpr_read_b32 v[vgprValuC+8], acc23 // copy acc to vreg[64]
v_accvgpr_read_b32 v[vgprValuC+9], acc95 // copy acc to vreg[65]
v_accvgpr_read_b32 v[vgprValuC+10], acc27 // copy acc to vreg[66]
v_accvgpr_read_b32 v[vgprValuC+11], acc99 // copy acc to vreg[67]
v_accvgpr_read_b32 v[vgprValuC+12], acc31 // copy acc to vreg[68]
v_accvgpr_read_b32 v[vgprValuC+13], acc103 // copy acc to vreg[69]
v_accvgpr_read_b32 v[vgprValuC+14], acc35 // copy acc to vreg[70]
v_accvgpr_read_b32 v[vgprValuC+15], acc107 // copy acc to vreg[71]
s_nop 1                                            // 2 wait states required before reading vgpr

/* apply mask, calc new C and issue writes */
_buffer_store_b64 v[8:9], v6, s[sgprSrdD:sgprSrdD+3], 0, offen, offset:640,  nt // store D
_buffer_store_b64 v[10:11], v6, s[sgprSrdD:sgprSrdD+3], 0, offen, offset:768,  nt // store D
	;; [unrolled: 1-line block ×4, first 2 shown]
s_nop 0                                            // 1 wait state required when next inst writes vgprs held by previous dwordx4 store inst
/* optSingleColVgpr=1 optSharedColVgpr=0 optSGPRUsage=BufferLoad_Mask optSrdIncForRow=1 */
s_sleep 3 // optimization: sync and wait
s_barrier

/******************************************/
/* Global Write Batch #9 (d1,d0,vc1,vc0) = */
/*    (1,0,0,0:vw1); (1,1,0,0:vw1); (1,2,0,0:vw1); (1,3,0,0:vw1) */
/******************************************/

/* calc coords, apply mask, and issue loads (if necessary) */
/* (d1,vc1,d0,vc0)=(1,0,0,0) */
/* (d1,vc1,d0,vc0)=(1,0,1,0) */
	;; [unrolled: 1-line block ×4, first 2 shown]
v_accvgpr_read_b32 v[vgprValuC+8], acc36 // copy acc to vreg[72]
v_accvgpr_read_b32 v[vgprValuC+9], acc108 // copy acc to vreg[73]
v_accvgpr_read_b32 v[vgprValuC+10], acc40 // copy acc to vreg[74]
v_accvgpr_read_b32 v[vgprValuC+11], acc112 // copy acc to vreg[75]
v_accvgpr_read_b32 v[vgprValuC+12], acc44 // copy acc to vreg[76]
v_accvgpr_read_b32 v[vgprValuC+13], acc116 // copy acc to vreg[77]
v_accvgpr_read_b32 v[vgprValuC+14], acc48 // copy acc to vreg[78]
v_accvgpr_read_b32 v[vgprValuC+15], acc120 // copy acc to vreg[79]
s_nop 1                                            // 2 wait states required before reading vgpr

/* apply mask, calc new C and issue writes */
s_mul_i32 s56, s[sgprStrideD1J], 488               // scale StrideD *= numRows(61) * bpe
s_add_u32  s[sgprSrdD+0], s[sgprSrdD+0], s56       // incToNextRow: gra SRD += inc(lower)
s_addc_u32  s[sgprSrdD+1], s[sgprSrdD+1], 0        // incToNextRow: gra SRD += inc(upper)
_buffer_store_b64 v[8:9], v6, s[sgprSrdD:sgprSrdD+3], 0, offen, offset:0,  nt // store D
_buffer_store_b64 v[10:11], v6, s[sgprSrdD:sgprSrdD+3], 0, offen, offset:128,  nt // store D
	;; [unrolled: 1-line block ×4, first 2 shown]
s_nop 0                                            // 1 wait state required when next inst writes vgprs held by previous dwordx4 store inst
/* optSingleColVgpr=1 optSharedColVgpr=0 optSGPRUsage=BufferLoad_Mask optSrdIncForRow=1 */
s_sleep 3 // optimization: sync and wait
s_barrier

/******************************************/
/* Global Write Batch #10 (d1,d0,vc1,vc0) = */
/*    (1,4,0,0:vw1); (1,5,0,0:vw1); (1,6,0,0:vw1); (1,7,0,0:vw1) */
/******************************************/

/* calc coords, apply mask, and issue loads (if necessary) */
/* (d1,vc1,d0,vc0)=(1,0,4,0) */
/* (d1,vc1,d0,vc0)=(1,0,5,0) */
	;; [unrolled: 1-line block ×4, first 2 shown]
v_accvgpr_read_b32 v[vgprValuC+8], acc52 // copy acc to vreg[80]
v_accvgpr_read_b32 v[vgprValuC+9], acc124 // copy acc to vreg[81]
v_accvgpr_read_b32 v[vgprValuC+10], acc56 // copy acc to vreg[82]
v_accvgpr_read_b32 v[vgprValuC+11], acc128 // copy acc to vreg[83]
v_accvgpr_read_b32 v[vgprValuC+12], acc60 // copy acc to vreg[84]
v_accvgpr_read_b32 v[vgprValuC+13], acc132 // copy acc to vreg[85]
v_accvgpr_read_b32 v[vgprValuC+14], acc64 // copy acc to vreg[86]
v_accvgpr_read_b32 v[vgprValuC+15], acc136 // copy acc to vreg[87]
s_nop 1                                            // 2 wait states required before reading vgpr

/* apply mask, calc new C and issue writes */
_buffer_store_b64 v[8:9], v6, s[sgprSrdD:sgprSrdD+3], 0, offen, offset:512,  nt // store D
_buffer_store_b64 v[10:11], v6, s[sgprSrdD:sgprSrdD+3], 0, offen, offset:640,  nt // store D
	;; [unrolled: 1-line block ×4, first 2 shown]
s_nop 0                                            // 1 wait state required when next inst writes vgprs held by previous dwordx4 store inst
/* optSingleColVgpr=1 optSharedColVgpr=0 optSGPRUsage=BufferLoad_Mask optSrdIncForRow=1 */
s_sleep 3 // optimization: sync and wait
s_barrier

/******************************************/
/* Global Write Batch #11 (d1,d0,vc1,vc0) = */
/*    (1,8,0,0:vw1); (1,0,1,0:vw1); (1,1,1,0:vw1); (1,2,1,0:vw1) */
/******************************************/

/* calc coords, apply mask, and issue loads (if necessary) */
/* (d1,vc1,d0,vc0)=(1,0,8,0) */
/* (d1,vc1,d0,vc0)=(1,1,0,0) */
/* (d1,vc1,d0,vc0)=(1,1,1,0) */
/* (d1,vc1,d0,vc0)=(1,1,2,0) */
v_accvgpr_read_b32 v[vgprValuC+8], acc68 // copy acc to vreg[88]
v_accvgpr_read_b32 v[vgprValuC+9], acc140 // copy acc to vreg[89]
v_accvgpr_read_b32 v[vgprValuC+10], acc37 // copy acc to vreg[90]
v_accvgpr_read_b32 v[vgprValuC+11], acc109 // copy acc to vreg[91]
v_accvgpr_read_b32 v[vgprValuC+12], acc41 // copy acc to vreg[92]
v_accvgpr_read_b32 v[vgprValuC+13], acc113 // copy acc to vreg[93]
v_accvgpr_read_b32 v[vgprValuC+14], acc45 // copy acc to vreg[94]
v_accvgpr_read_b32 v[vgprValuC+15], acc117 // copy acc to vreg[95]
s_nop 1                                            // 2 wait states required before reading vgpr

/* apply mask, calc new C and issue writes */
_buffer_store_b64 v[8:9], v6, s[sgprSrdD:sgprSrdD+3], 0, offen, offset:1024,  nt // store D
s_lshl_b32  s56, s[sgprStrideD1J], 3               // incToNextRow: Scale by BPE
s_add_u32  s[sgprSrdD+0], s[sgprSrdD+0], s56       // incToNextRow: gra SRD += inc(lower)
s_addc_u32  s[sgprSrdD+1], s[sgprSrdD+1], 0        // incToNextRow: gra SRD += inc(upper)
_buffer_store_b64 v[10:11], v6, s[sgprSrdD:sgprSrdD+3], 0, offen, offset:0,  nt // store D
_buffer_store_b64 v[12:13], v6, s[sgprSrdD:sgprSrdD+3], 0, offen, offset:128,  nt // store D
	;; [unrolled: 1-line block ×3, first 2 shown]
s_nop 0                                            // 1 wait state required when next inst writes vgprs held by previous dwordx4 store inst
/* optSingleColVgpr=1 optSharedColVgpr=0 optSGPRUsage=BufferLoad_Mask optSrdIncForRow=1 */
s_sleep 3 // optimization: sync and wait
s_barrier

/******************************************/
/* Global Write Batch #12 (d1,d0,vc1,vc0) = */
/*    (1,3,1,0:vw1); (1,4,1,0:vw1); (1,5,1,0:vw1); (1,6,1,0:vw1) */
/******************************************/

/* calc coords, apply mask, and issue loads (if necessary) */
/* (d1,vc1,d0,vc0)=(1,1,3,0) */
/* (d1,vc1,d0,vc0)=(1,1,4,0) */
	;; [unrolled: 1-line block ×4, first 2 shown]
v_accvgpr_read_b32 v[vgprValuC+8], acc49 // copy acc to vreg[96]
v_accvgpr_read_b32 v[vgprValuC+9], acc121 // copy acc to vreg[97]
v_accvgpr_read_b32 v[vgprValuC+10], acc53 // copy acc to vreg[98]
v_accvgpr_read_b32 v[vgprValuC+11], acc125 // copy acc to vreg[99]
v_accvgpr_read_b32 v[vgprValuC+12], acc57 // copy acc to vreg[100]
v_accvgpr_read_b32 v[vgprValuC+13], acc129 // copy acc to vreg[101]
v_accvgpr_read_b32 v[vgprValuC+14], acc61 // copy acc to vreg[102]
v_accvgpr_read_b32 v[vgprValuC+15], acc133 // copy acc to vreg[103]
s_nop 1                                            // 2 wait states required before reading vgpr

/* apply mask, calc new C and issue writes */
_buffer_store_b64 v[8:9], v6, s[sgprSrdD:sgprSrdD+3], 0, offen, offset:384,  nt // store D
_buffer_store_b64 v[10:11], v6, s[sgprSrdD:sgprSrdD+3], 0, offen, offset:512,  nt // store D
	;; [unrolled: 1-line block ×4, first 2 shown]
s_nop 0                                            // 1 wait state required when next inst writes vgprs held by previous dwordx4 store inst
/* optSingleColVgpr=1 optSharedColVgpr=0 optSGPRUsage=BufferLoad_Mask optSrdIncForRow=1 */
s_sleep 3 // optimization: sync and wait
s_barrier

/******************************************/
/* Global Write Batch #13 (d1,d0,vc1,vc0) = */
/*    (1,7,1,0:vw1); (1,8,1,0:vw1); (1,0,2,0:vw1); (1,1,2,0:vw1) */
/******************************************/

/* calc coords, apply mask, and issue loads (if necessary) */
/* (d1,vc1,d0,vc0)=(1,1,7,0) */
/* (d1,vc1,d0,vc0)=(1,1,8,0) */
	;; [unrolled: 1-line block ×4, first 2 shown]
v_accvgpr_read_b32 v[vgprValuC+8], acc65 // copy acc to vreg[104]
v_accvgpr_read_b32 v[vgprValuC+9], acc137 // copy acc to vreg[105]
v_accvgpr_read_b32 v[vgprValuC+10], acc69 // copy acc to vreg[106]
v_accvgpr_read_b32 v[vgprValuC+11], acc141 // copy acc to vreg[107]
v_accvgpr_read_b32 v[vgprValuC+12], acc38 // copy acc to vreg[108]
v_accvgpr_read_b32 v[vgprValuC+13], acc110 // copy acc to vreg[109]
v_accvgpr_read_b32 v[vgprValuC+14], acc42 // copy acc to vreg[110]
v_accvgpr_read_b32 v[vgprValuC+15], acc114 // copy acc to vreg[111]
s_nop 1                                            // 2 wait states required before reading vgpr

/* apply mask, calc new C and issue writes */
_buffer_store_b64 v[8:9], v6, s[sgprSrdD:sgprSrdD+3], 0, offen, offset:896,  nt // store D
_buffer_store_b64 v[10:11], v6, s[sgprSrdD:sgprSrdD+3], 0, offen, offset:1024,  nt // store D
s_lshl_b32  s56, s[sgprStrideD1J], 3               // incToNextRow: Scale by BPE
s_add_u32  s[sgprSrdD+0], s[sgprSrdD+0], s56       // incToNextRow: gra SRD += inc(lower)
s_addc_u32  s[sgprSrdD+1], s[sgprSrdD+1], 0        // incToNextRow: gra SRD += inc(upper)
_buffer_store_b64 v[12:13], v6, s[sgprSrdD:sgprSrdD+3], 0, offen, offset:0,  nt // store D
_buffer_store_b64 v[14:15], v6, s[sgprSrdD:sgprSrdD+3], 0, offen, offset:128,  nt // store D
s_nop 0                                            // 1 wait state required when next inst writes vgprs held by previous dwordx4 store inst
/* optSingleColVgpr=1 optSharedColVgpr=0 optSGPRUsage=BufferLoad_Mask optSrdIncForRow=1 */
s_sleep 3 // optimization: sync and wait
s_barrier

/******************************************/
/* Global Write Batch #14 (d1,d0,vc1,vc0) = */
/*    (1,2,2,0:vw1); (1,3,2,0:vw1); (1,4,2,0:vw1); (1,5,2,0:vw1) */
/******************************************/

/* calc coords, apply mask, and issue loads (if necessary) */
/* (d1,vc1,d0,vc0)=(1,2,2,0) */
/* (d1,vc1,d0,vc0)=(1,2,3,0) */
	;; [unrolled: 1-line block ×4, first 2 shown]
v_accvgpr_read_b32 v[vgprValuC+8], acc46 // copy acc to vreg[112]
v_accvgpr_read_b32 v[vgprValuC+9], acc118 // copy acc to vreg[113]
v_accvgpr_read_b32 v[vgprValuC+10], acc50 // copy acc to vreg[114]
v_accvgpr_read_b32 v[vgprValuC+11], acc122 // copy acc to vreg[115]
v_accvgpr_read_b32 v[vgprValuC+12], acc54 // copy acc to vreg[116]
v_accvgpr_read_b32 v[vgprValuC+13], acc126 // copy acc to vreg[117]
v_accvgpr_read_b32 v[vgprValuC+14], acc58 // copy acc to vreg[118]
v_accvgpr_read_b32 v[vgprValuC+15], acc130 // copy acc to vreg[119]
s_nop 1                                            // 2 wait states required before reading vgpr

/* apply mask, calc new C and issue writes */
_buffer_store_b64 v[8:9], v6, s[sgprSrdD:sgprSrdD+3], 0, offen, offset:256,  nt // store D
_buffer_store_b64 v[10:11], v6, s[sgprSrdD:sgprSrdD+3], 0, offen, offset:384,  nt // store D
	;; [unrolled: 1-line block ×4, first 2 shown]
s_nop 0                                            // 1 wait state required when next inst writes vgprs held by previous dwordx4 store inst
/* optSingleColVgpr=1 optSharedColVgpr=0 optSGPRUsage=BufferLoad_Mask optSrdIncForRow=1 */
s_sleep 3 // optimization: sync and wait
s_barrier

/******************************************/
/* Global Write Batch #15 (d1,d0,vc1,vc0) = */
/*    (1,6,2,0:vw1); (1,7,2,0:vw1); (1,8,2,0:vw1); (1,0,3,0:vw1) */
/******************************************/

/* calc coords, apply mask, and issue loads (if necessary) */
/* (d1,vc1,d0,vc0)=(1,2,6,0) */
/* (d1,vc1,d0,vc0)=(1,2,7,0) */
	;; [unrolled: 1-line block ×4, first 2 shown]
v_accvgpr_read_b32 v[vgprValuC+8], acc62 // copy acc to vreg[120]
v_accvgpr_read_b32 v[vgprValuC+9], acc134 // copy acc to vreg[121]
v_accvgpr_read_b32 v[vgprValuC+10], acc66 // copy acc to vreg[122]
v_accvgpr_read_b32 v[vgprValuC+11], acc138 // copy acc to vreg[123]
v_accvgpr_read_b32 v[vgprValuC+12], acc70 // copy acc to vreg[124]
v_accvgpr_read_b32 v[vgprValuC+13], acc142 // copy acc to vreg[125]
v_accvgpr_read_b32 v[vgprValuC+14], acc39 // copy acc to vreg[126]
v_accvgpr_read_b32 v[vgprValuC+15], acc111 // copy acc to vreg[127]
s_nop 1                                            // 2 wait states required before reading vgpr

/* apply mask, calc new C and issue writes */
_buffer_store_b64 v[8:9], v6, s[sgprSrdD:sgprSrdD+3], 0, offen, offset:768,  nt // store D
_buffer_store_b64 v[10:11], v6, s[sgprSrdD:sgprSrdD+3], 0, offen, offset:896,  nt // store D
	;; [unrolled: 1-line block ×3, first 2 shown]
s_lshl_b32  s56, s[sgprStrideD1J], 3               // incToNextRow: Scale by BPE
s_add_u32  s[sgprSrdD+0], s[sgprSrdD+0], s56       // incToNextRow: gra SRD += inc(lower)
s_addc_u32  s[sgprSrdD+1], s[sgprSrdD+1], 0        // incToNextRow: gra SRD += inc(upper)
_buffer_store_b64 v[14:15], v6, s[sgprSrdD:sgprSrdD+3], 0, offen, offset:0,  nt // store D
s_nop 0                                            // 1 wait state required when next inst writes vgprs held by previous dwordx4 store inst
/* optSingleColVgpr=1 optSharedColVgpr=0 optSGPRUsage=BufferLoad_Mask optSrdIncForRow=1 */
s_sleep 3 // optimization: sync and wait
s_barrier

/******************************************/
/* Global Write Batch #16 (d1,d0,vc1,vc0) = */
/*    (1,1,3,0:vw1); (1,2,3,0:vw1); (1,3,3,0:vw1); (1,4,3,0:vw1) */
/******************************************/

/* calc coords, apply mask, and issue loads (if necessary) */
/* (d1,vc1,d0,vc0)=(1,3,1,0) */
/* (d1,vc1,d0,vc0)=(1,3,2,0) */
/* (d1,vc1,d0,vc0)=(1,3,3,0) */
/* (d1,vc1,d0,vc0)=(1,3,4,0) */
v_accvgpr_read_b32 v[vgprValuC+8], acc43 // copy acc to vreg[128]
v_accvgpr_read_b32 v[vgprValuC+9], acc115 // copy acc to vreg[129]
v_accvgpr_read_b32 v[vgprValuC+10], acc47 // copy acc to vreg[130]
v_accvgpr_read_b32 v[vgprValuC+11], acc119 // copy acc to vreg[131]
v_accvgpr_read_b32 v[vgprValuC+12], acc51 // copy acc to vreg[132]
v_accvgpr_read_b32 v[vgprValuC+13], acc123 // copy acc to vreg[133]
v_accvgpr_read_b32 v[vgprValuC+14], acc55 // copy acc to vreg[134]
v_accvgpr_read_b32 v[vgprValuC+15], acc127 // copy acc to vreg[135]
s_nop 1                                            // 2 wait states required before reading vgpr

/* apply mask, calc new C and issue writes */
_buffer_store_b64 v[8:9], v6, s[sgprSrdD:sgprSrdD+3], 0, offen, offset:128,  nt // store D
_buffer_store_b64 v[10:11], v6, s[sgprSrdD:sgprSrdD+3], 0, offen, offset:256,  nt // store D
	;; [unrolled: 1-line block ×4, first 2 shown]
s_nop 0                                            // 1 wait state required when next inst writes vgprs held by previous dwordx4 store inst
/* optSingleColVgpr=1 optSharedColVgpr=0 optSGPRUsage=BufferLoad_Mask optSrdIncForRow=1 */
s_sleep 3 // optimization: sync and wait
s_barrier

/******************************************/
/* Global Write Batch #17 (d1,d0,vc1,vc0) = */
/*    (1,5,3,0:vw1); (1,6,3,0:vw1); (1,7,3,0:vw1); (1,8,3,0:vw1) */
/******************************************/

/* calc coords, apply mask, and issue loads (if necessary) */
/* (d1,vc1,d0,vc0)=(1,3,5,0) */
/* (d1,vc1,d0,vc0)=(1,3,6,0) */
	;; [unrolled: 1-line block ×4, first 2 shown]
v_accvgpr_read_b32 v[vgprValuC+8], acc59 // copy acc to vreg[136]
v_accvgpr_read_b32 v[vgprValuC+9], acc131 // copy acc to vreg[137]
v_accvgpr_read_b32 v[vgprValuC+10], acc63 // copy acc to vreg[138]
v_accvgpr_read_b32 v[vgprValuC+11], acc135 // copy acc to vreg[139]
v_accvgpr_read_b32 v[vgprValuC+12], acc67 // copy acc to vreg[140]
v_accvgpr_read_b32 v[vgprValuC+13], acc139 // copy acc to vreg[141]
v_accvgpr_read_b32 v[vgprValuC+14], acc71 // copy acc to vreg[142]
v_accvgpr_read_b32 v[vgprValuC+15], acc143 // copy acc to vreg[143]
s_nop 1                                            // 2 wait states required before reading vgpr

/* apply mask, calc new C and issue writes */
_buffer_store_b64 v[8:9], v6, s[sgprSrdD:sgprSrdD+3], 0, offen, offset:640,  nt // store D
_buffer_store_b64 v[10:11], v6, s[sgprSrdD:sgprSrdD+3], 0, offen, offset:768,  nt // store D
	;; [unrolled: 1-line block ×4, first 2 shown]
s_nop 0                                            // 1 wait state required when next inst writes vgprs held by previous dwordx4 store inst
s_branch label_GW_End_23                           // jump to end
label_GW_End_23:

s_endpgm                                           // Kernel End
OptNLL_End_17:


/******************************************/
/* Ord. NoLoadLoop - Begin                                      */
/******************************************/


	;; [unrolled: 1-line block ×4, first 2 shown]
/* iter 0 (last unrolled loop) */

/*  grEndMfmaIndex:0, lwStartMfmaIndex:277, lwEndMfmaIndex:277  */
/*  numMfmaForLR:8, barrierMfmaIndex:279, LocalWritePerMfma:0.100 */
/*  mfmaIndex:0  */
s_waitcnt lgkmcnt(0)                               // lgkmcnt=0 vmcnt=-1wait for prior local read local write old=0, new=0 newLW=0 newLR=0
v_add_f32 v85, -v[vgprValuA_X0_I0+0+0+0+1], 0      // Ai=-Ai
v_mfma_f32_16x16x4_f32 a[0+0:3+0], v[vgprValuB_X0_I0+0+0+0], v[vgprValuA_X0_I0+0+0+0], a[0:3]
 // Cr += Ar*Br
/*  mfmaIndex:1  */
_ds_load_b64 v[vgprValuA_X1_I0+0:vgprValuA_X1_I0+0+1], v[vgprLocalReadAddrA] offset:32 // L -> Reg lro=4 swapByteOffset=0 ti=16 vIdx=0 rIdx=0 oIdx=0 buffer=1 iui=0
_ds_load_b64 v[vgprValuB_X1_I0+0:vgprValuB_X1_I0+0+1], v[vgprLocalReadAddrB] offset:32 // L -> Reg lro=4 swapByteOffset=0 ti=64 vIdx=0 rIdx=0 oIdx=0 buffer=1 iui=0
v_mfma_f32_16x16x4_f32 a[72+0:75+0], v[vgprValuB_X0_I0+0+0+0], v[vgprValuA_X0_I0+0+0+0+1], a[72:75]
 // Ci += Ai*Br
/*  mfmaIndex:2  */
_ds_load_b64 v[vgprValuA_X1_I0+2:vgprValuA_X1_I0+2+1], v[vgprLocalReadAddrA] offset:2208 // L -> Reg lro=4 swapByteOffset=0 ti=16 vIdx=1 rIdx=0 oIdx=0 buffer=1 iui=0
_ds_load_b64 v[vgprValuA_X1_I0+4:vgprValuA_X1_I0+4+1], v[vgprLocalReadAddrA] offset:4384 // L -> Reg lro=4 swapByteOffset=0 ti=16 vIdx=2 rIdx=0 oIdx=0 buffer=1 iui=0
v_mfma_f32_16x16x4_f32 a[0+0:3+0], v[vgprValuB_X0_I0+0+0+0+1], v85, a[0:3]
 // Cr += -Ai*Bi
/*  mfmaIndex:3  */
_ds_load_b64 v[vgprValuA_X1_I0+6:vgprValuA_X1_I0+6+1], v[vgprLocalReadAddrA] offset:6560 // L -> Reg lro=4 swapByteOffset=0 ti=16 vIdx=3 rIdx=0 oIdx=0 buffer=1 iui=0
_ds_load_b64 v[vgprValuA_X1_I0+8:vgprValuA_X1_I0+8+1], v[vgprLocalReadAddrA] offset:8736 // L -> Reg lro=4 swapByteOffset=0 ti=16 vIdx=4 rIdx=0 oIdx=0 buffer=1 iui=0
v_mfma_f32_16x16x4_f32 a[72+0:75+0], v[vgprValuB_X0_I0+0+0+0+1], v[vgprValuA_X0_I0+0+0+0], a[72:75]
 // Ci += Ar*Bi
/*  mfmaIndex:4  */
_ds_load_b64 v[vgprValuA_X1_I0+10:vgprValuA_X1_I0+10+1], v[vgprLocalReadAddrA] offset:10912 // L -> Reg lro=4 swapByteOffset=0 ti=16 vIdx=5 rIdx=0 oIdx=0 buffer=1 iui=0
_ds_load_b64 v[vgprValuA_X1_I0+12:vgprValuA_X1_I0+12+1], v[vgprLocalReadAddrA] offset:13088 // L -> Reg lro=4 swapByteOffset=0 ti=16 vIdx=6 rIdx=0 oIdx=0 buffer=1 iui=0
v_mfma_f32_16x16x4_f32 a[36+0:39+0], v[vgprValuB_X0_I0+2+0+0], v[vgprValuA_X0_I0+0+0+0], a[36:39]
 // Cr += Ar*Br
/*  mfmaIndex:5  */
_ds_load_b64 v[vgprValuA_X1_I0+14:vgprValuA_X1_I0+14+1], v[vgprLocalReadAddrA] offset:15264 // L -> Reg lro=4 swapByteOffset=0 ti=16 vIdx=7 rIdx=0 oIdx=0 buffer=1 iui=0
_ds_load_b64 v[vgprValuA_X1_I0+16:vgprValuA_X1_I0+16+1], v[vgprLocalReadAddrA] offset:17440 // L -> Reg lro=4 swapByteOffset=0 ti=16 vIdx=8 rIdx=0 oIdx=0 buffer=1 iui=0
v_mfma_f32_16x16x4_f32 a[108+0:111+0], v[vgprValuB_X0_I0+2+0+0], v[vgprValuA_X0_I0+0+0+0+1], a[108:111]
 // Ci += Ai*Br
/*  mfmaIndex:6  */
_ds_load_b64 v[vgprValuB_X1_I0+2:vgprValuB_X1_I0+2+1], v[vgprLocalReadAddrB] offset:9248 // L -> Reg lro=4 swapByteOffset=0 ti=64 vIdx=1 rIdx=0 oIdx=0 buffer=1 iui=0
/* localReadsVacancy: latencyLeft 3 */
v_mfma_f32_16x16x4_f32 a[36+0:39+0], v[vgprValuB_X0_I0+2+0+0+1], v85, a[36:39]
 // Cr += -Ai*Bi
/*  mfmaIndex:7  */
/* localReadsVacancy: latencyLeft 5 */
v_mfma_f32_16x16x4_f32 a[108+0:111+0], v[vgprValuB_X0_I0+2+0+0+1], v[vgprValuA_X0_I0+0+0+0], a[108:111]
 // Ci += Ar*Bi
/*  mfmaIndex:8  */
/* localReadsVacancy: latencyLeft 5 */
v_add_f32 v85, -v[vgprValuA_X0_I0+2+0+0+1], 0      // Ai=-Ai
v_mfma_f32_16x16x4_f32 a[4+0:7+0], v[vgprValuB_X0_I0+0+0+0], v[vgprValuA_X0_I0+2+0+0], a[4:7]
 // Cr += Ar*Br
/*  mfmaIndex:9  */
/* localReadsVacancy: latencyLeft 5 */
v_mfma_f32_16x16x4_f32 a[76+0:79+0], v[vgprValuB_X0_I0+0+0+0], v[vgprValuA_X0_I0+2+0+0+1], a[76:79]
 // Ci += Ai*Br
/*  mfmaIndex:10  */
/* localReadsVacancy: latencyLeft 5 */
v_mfma_f32_16x16x4_f32 a[4+0:7+0], v[vgprValuB_X0_I0+0+0+0+1], v85, a[4:7]
 // Cr += -Ai*Bi
/*  mfmaIndex:11  */
/* localReadsVacancy: latencyLeft 5 */
v_mfma_f32_16x16x4_f32 a[76+0:79+0], v[vgprValuB_X0_I0+0+0+0+1], v[vgprValuA_X0_I0+2+0+0], a[76:79]
 // Ci += Ar*Bi
/*  mfmaIndex:12  */
/* localReadsVacancy: latencyLeft 5 */
v_mfma_f32_16x16x4_f32 a[40+0:43+0], v[vgprValuB_X0_I0+2+0+0], v[vgprValuA_X0_I0+2+0+0], a[40:43]
 // Cr += Ar*Br
/*  mfmaIndex:13  */
/* localReadsVacancy: latencyLeft 5 */
v_mfma_f32_16x16x4_f32 a[112+0:115+0], v[vgprValuB_X0_I0+2+0+0], v[vgprValuA_X0_I0+2+0+0+1], a[112:115]
 // Ci += Ai*Br
/*  mfmaIndex:14  */
/* localReadsVacancy: latencyLeft 5 */
v_mfma_f32_16x16x4_f32 a[40+0:43+0], v[vgprValuB_X0_I0+2+0+0+1], v85, a[40:43]
 // Cr += -Ai*Bi
/*  mfmaIndex:15  */
/* localReadsVacancy: latencyLeft 5 */
v_mfma_f32_16x16x4_f32 a[112+0:115+0], v[vgprValuB_X0_I0+2+0+0+1], v[vgprValuA_X0_I0+2+0+0], a[112:115]
 // Ci += Ar*Bi
/*  mfmaIndex:16  */
/* localReadsVacancy: latencyLeft 5 */
v_add_f32 v85, -v[vgprValuA_X0_I0+4+0+0+1], 0      // Ai=-Ai
v_mfma_f32_16x16x4_f32 a[8+0:11+0], v[vgprValuB_X0_I0+0+0+0], v[vgprValuA_X0_I0+4+0+0], a[8:11]
 // Cr += Ar*Br
/*  mfmaIndex:17  */
/* localReadsVacancy: latencyLeft 5 */
v_mfma_f32_16x16x4_f32 a[80+0:83+0], v[vgprValuB_X0_I0+0+0+0], v[vgprValuA_X0_I0+4+0+0+1], a[80:83]
 // Ci += Ai*Br
/*  mfmaIndex:18  */
/* localReadsVacancy: latencyLeft 5 */
v_mfma_f32_16x16x4_f32 a[8+0:11+0], v[vgprValuB_X0_I0+0+0+0+1], v85, a[8:11]
 // Cr += -Ai*Bi
/*  mfmaIndex:19  */
/* localReadsVacancy: latencyLeft 5 */
v_mfma_f32_16x16x4_f32 a[80+0:83+0], v[vgprValuB_X0_I0+0+0+0+1], v[vgprValuA_X0_I0+4+0+0], a[80:83]
 // Ci += Ar*Bi
/*  mfmaIndex:20  */
/* localReadsVacancy: latencyLeft 5 */
v_mfma_f32_16x16x4_f32 a[44+0:47+0], v[vgprValuB_X0_I0+2+0+0], v[vgprValuA_X0_I0+4+0+0], a[44:47]
 // Cr += Ar*Br
/*  mfmaIndex:21  */
/* localReadsVacancy: latencyLeft 5 */
v_mfma_f32_16x16x4_f32 a[116+0:119+0], v[vgprValuB_X0_I0+2+0+0], v[vgprValuA_X0_I0+4+0+0+1], a[116:119]
 // Ci += Ai*Br
/*  mfmaIndex:22  */
	;; [unrolled: 33-line block ×4, first 2 shown]
/* localReadsVacancy: latencyLeft 5 */
v_mfma_f32_16x16x4_f32 a[52+0:55+0], v[vgprValuB_X0_I0+2+0+0+1], v85, a[52:55]
 // Cr += -Ai*Bi
/*  mfmaIndex:39  */
/* localReadsVacancy: latencyLeft 5 */
v_mfma_f32_16x16x4_f32 a[124+0:127+0], v[vgprValuB_X0_I0+2+0+0+1], v[vgprValuA_X0_I0+8+0+0], a[124:127]
 // Ci += Ar*Bi
/*  mfmaIndex:40  */
/* localReadsVacancy: latencyLeft 5 */
v_add_f32 v85, -v[vgprValuA_X0_I0+10+0+0+1], 0     // Ai=-Ai
v_mfma_f32_16x16x4_f32 a[20+0:23+0], v[vgprValuB_X0_I0+0+0+0], v[vgprValuA_X0_I0+10+0+0], a[20:23]
 // Cr += Ar*Br
/*  mfmaIndex:41  */
/* localReadsVacancy: latencyLeft 5 */
v_mfma_f32_16x16x4_f32 a[92+0:95+0], v[vgprValuB_X0_I0+0+0+0], v[vgprValuA_X0_I0+10+0+0+1], a[92:95]
 // Ci += Ai*Br
/*  mfmaIndex:42  */
/* localReadsVacancy: latencyLeft 5 */
v_mfma_f32_16x16x4_f32 a[20+0:23+0], v[vgprValuB_X0_I0+0+0+0+1], v85, a[20:23]
 // Cr += -Ai*Bi
/*  mfmaIndex:43  */
/* localReadsVacancy: latencyLeft 5 */
v_mfma_f32_16x16x4_f32 a[92+0:95+0], v[vgprValuB_X0_I0+0+0+0+1], v[vgprValuA_X0_I0+10+0+0], a[92:95]
 // Ci += Ar*Bi
/*  mfmaIndex:44  */
/* localReadsVacancy: latencyLeft 5 */
v_mfma_f32_16x16x4_f32 a[56+0:59+0], v[vgprValuB_X0_I0+2+0+0], v[vgprValuA_X0_I0+10+0+0], a[56:59]
 // Cr += Ar*Br
/*  mfmaIndex:45  */
/* localReadsVacancy: latencyLeft 5 */
v_mfma_f32_16x16x4_f32 a[128+0:131+0], v[vgprValuB_X0_I0+2+0+0], v[vgprValuA_X0_I0+10+0+0+1], a[128:131]
 // Ci += Ai*Br
/*  mfmaIndex:46  */
/* localReadsVacancy: latencyLeft 5 */
v_mfma_f32_16x16x4_f32 a[56+0:59+0], v[vgprValuB_X0_I0+2+0+0+1], v85, a[56:59]
 // Cr += -Ai*Bi
/*  mfmaIndex:47  */
/* localReadsVacancy: latencyLeft 5 */
v_mfma_f32_16x16x4_f32 a[128+0:131+0], v[vgprValuB_X0_I0+2+0+0+1], v[vgprValuA_X0_I0+10+0+0], a[128:131]
 // Ci += Ar*Bi
/*  mfmaIndex:48  */
/* localReadsVacancy: latencyLeft 5 */
v_add_f32 v85, -v[vgprValuA_X0_I0+12+0+0+1], 0     // Ai=-Ai
v_mfma_f32_16x16x4_f32 a[24+0:27+0], v[vgprValuB_X0_I0+0+0+0], v[vgprValuA_X0_I0+12+0+0], a[24:27]
 // Cr += Ar*Br
/*  mfmaIndex:49  */
/* localReadsVacancy: latencyLeft 5 */
v_mfma_f32_16x16x4_f32 a[96+0:99+0], v[vgprValuB_X0_I0+0+0+0], v[vgprValuA_X0_I0+12+0+0+1], a[96:99]
 // Ci += Ai*Br
/*  mfmaIndex:50  */
/* localReadsVacancy: latencyLeft 5 */
v_mfma_f32_16x16x4_f32 a[24+0:27+0], v[vgprValuB_X0_I0+0+0+0+1], v85, a[24:27]
 // Cr += -Ai*Bi
/*  mfmaIndex:51  */
/* localReadsVacancy: latencyLeft 5 */
v_mfma_f32_16x16x4_f32 a[96+0:99+0], v[vgprValuB_X0_I0+0+0+0+1], v[vgprValuA_X0_I0+12+0+0], a[96:99]
 // Ci += Ar*Bi
/*  mfmaIndex:52  */
/* localReadsVacancy: latencyLeft 5 */
v_mfma_f32_16x16x4_f32 a[60+0:63+0], v[vgprValuB_X0_I0+2+0+0], v[vgprValuA_X0_I0+12+0+0], a[60:63]
 // Cr += Ar*Br
/*  mfmaIndex:53  */
/* localReadsVacancy: latencyLeft 5 */
v_mfma_f32_16x16x4_f32 a[132+0:135+0], v[vgprValuB_X0_I0+2+0+0], v[vgprValuA_X0_I0+12+0+0+1], a[132:135]
 // Ci += Ai*Br
/*  mfmaIndex:54  */
	;; [unrolled: 33-line block ×4, first 2 shown]
/* localReadsVacancy: latencyLeft 5 */
v_mfma_f32_16x16x4_f32 a[68+0:71+0], v[vgprValuB_X0_I0+2+0+0+1], v85, a[68:71]
 // Cr += -Ai*Bi
/*  mfmaIndex:71  */
/* localReadsVacancy: latencyLeft 5 */
v_mfma_f32_16x16x4_f32 a[140+0:143+0], v[vgprValuB_X0_I0+2+0+0+1], v[vgprValuA_X0_I0+16+0+0], a[140:143]
 // Ci += Ar*Bi
/* numPrefetchIter=0 */
/* dataAtIterA=-1 numReadsIterA=1 skipReadsIterA=1 readsPerIterA=9 */
/* dataAtIterB=-1 numReadsIterB=1 skipReadsIterB=1 readsPerIterB=2 */


/* iter 1 (last unrolled loop) */

/*  grEndMfmaIndex:0, lwStartMfmaIndex:277, lwEndMfmaIndex:277  */
/*  numMfmaForLR:8, barrierMfmaIndex:279, LocalWritePerMfma:0.100 */
/*  mfmaIndex:72  */
_ds_load_b64 v[vgprValuA_X0_I0+0:vgprValuA_X0_I0+0+1], v[vgprLocalReadAddrA] offset:64 // L -> Reg lro=8 swapByteOffset=0 ti=16 vIdx=0 rIdx=0 oIdx=0 buffer=0 iui=0
_ds_load_b64 v[vgprValuB_X0_I0+0:vgprValuB_X0_I0+0+1], v[vgprLocalReadAddrB] offset:64 // L -> Reg lro=8 swapByteOffset=0 ti=64 vIdx=0 rIdx=0 oIdx=0 buffer=0 iui=0
s_waitcnt lgkmcnt(2)                               // lgkmcnt=0 vmcnt=-1wait for prior local read local write old=0, new=2 newLW=0 newLR=2
v_add_f32 v85, -v[vgprValuA_X1_I0+0+0+0+1], 0      // Ai=-Ai
v_mfma_f32_16x16x4_f32 a[0+0:3+0], v[vgprValuB_X1_I0+0+0+0], v[vgprValuA_X1_I0+0+0+0], a[0:3]
 // Cr += Ar*Br
/*  mfmaIndex:73  */
_ds_load_b64 v[vgprValuA_X0_I0+2:vgprValuA_X0_I0+2+1], v[vgprLocalReadAddrA] offset:2240 // L -> Reg lro=8 swapByteOffset=0 ti=16 vIdx=1 rIdx=0 oIdx=0 buffer=0 iui=0
_ds_load_b64 v[vgprValuA_X0_I0+4:vgprValuA_X0_I0+4+1], v[vgprLocalReadAddrA] offset:4416 // L -> Reg lro=8 swapByteOffset=0 ti=16 vIdx=2 rIdx=0 oIdx=0 buffer=0 iui=0
v_mfma_f32_16x16x4_f32 a[72+0:75+0], v[vgprValuB_X1_I0+0+0+0], v[vgprValuA_X1_I0+0+0+0+1], a[72:75]
 // Ci += Ai*Br
/*  mfmaIndex:74  */
_ds_load_b64 v[vgprValuA_X0_I0+6:vgprValuA_X0_I0+6+1], v[vgprLocalReadAddrA] offset:6592 // L -> Reg lro=8 swapByteOffset=0 ti=16 vIdx=3 rIdx=0 oIdx=0 buffer=0 iui=0
_ds_load_b64 v[vgprValuA_X0_I0+8:vgprValuA_X0_I0+8+1], v[vgprLocalReadAddrA] offset:8768 // L -> Reg lro=8 swapByteOffset=0 ti=16 vIdx=4 rIdx=0 oIdx=0 buffer=0 iui=0
v_mfma_f32_16x16x4_f32 a[0+0:3+0], v[vgprValuB_X1_I0+0+0+0+1], v85, a[0:3]
 // Cr += -Ai*Bi
/*  mfmaIndex:75  */
_ds_load_b64 v[vgprValuA_X0_I0+10:vgprValuA_X0_I0+10+1], v[vgprLocalReadAddrA] offset:10944 // L -> Reg lro=8 swapByteOffset=0 ti=16 vIdx=5 rIdx=0 oIdx=0 buffer=0 iui=0
_ds_load_b64 v[vgprValuA_X0_I0+12:vgprValuA_X0_I0+12+1], v[vgprLocalReadAddrA] offset:13120 // L -> Reg lro=8 swapByteOffset=0 ti=16 vIdx=6 rIdx=0 oIdx=0 buffer=0 iui=0
v_mfma_f32_16x16x4_f32 a[72+0:75+0], v[vgprValuB_X1_I0+0+0+0+1], v[vgprValuA_X1_I0+0+0+0], a[72:75]
 // Ci += Ar*Bi
/*  mfmaIndex:76  */
_ds_load_b64 v[vgprValuA_X0_I0+14:vgprValuA_X0_I0+14+1], v[vgprLocalReadAddrA] offset:15296 // L -> Reg lro=8 swapByteOffset=0 ti=16 vIdx=7 rIdx=0 oIdx=0 buffer=0 iui=0
_ds_load_b64 v[vgprValuA_X0_I0+16:vgprValuA_X0_I0+16+1], v[vgprLocalReadAddrA] offset:17472 // L -> Reg lro=8 swapByteOffset=0 ti=16 vIdx=8 rIdx=0 oIdx=0 buffer=0 iui=0
v_mfma_f32_16x16x4_f32 a[36+0:39+0], v[vgprValuB_X1_I0+2+0+0], v[vgprValuA_X1_I0+0+0+0], a[36:39]
 // Cr += Ar*Br
/*  mfmaIndex:77  */
_ds_load_b64 v[vgprValuB_X0_I0+2:vgprValuB_X0_I0+2+1], v[vgprLocalReadAddrB] offset:9280 // L -> Reg lro=8 swapByteOffset=0 ti=64 vIdx=1 rIdx=0 oIdx=0 buffer=0 iui=0
/* localReadsVacancy: latencyLeft 3 */
v_mfma_f32_16x16x4_f32 a[108+0:111+0], v[vgprValuB_X1_I0+2+0+0], v[vgprValuA_X1_I0+0+0+0+1], a[108:111]
 // Ci += Ai*Br
/*  mfmaIndex:78  */
/* localReadsVacancy: latencyLeft 5 */
v_mfma_f32_16x16x4_f32 a[36+0:39+0], v[vgprValuB_X1_I0+2+0+0+1], v85, a[36:39]
 // Cr += -Ai*Bi
/*  mfmaIndex:79  */
/* localReadsVacancy: latencyLeft 5 */
v_mfma_f32_16x16x4_f32 a[108+0:111+0], v[vgprValuB_X1_I0+2+0+0+1], v[vgprValuA_X1_I0+0+0+0], a[108:111]
 // Ci += Ar*Bi
/*  mfmaIndex:80  */
/* localReadsVacancy: latencyLeft 5 */
v_add_f32 v85, -v[vgprValuA_X1_I0+2+0+0+1], 0      // Ai=-Ai
v_mfma_f32_16x16x4_f32 a[4+0:7+0], v[vgprValuB_X1_I0+0+0+0], v[vgprValuA_X1_I0+2+0+0], a[4:7]
 // Cr += Ar*Br
/*  mfmaIndex:81  */
/* localReadsVacancy: latencyLeft 5 */
v_mfma_f32_16x16x4_f32 a[76+0:79+0], v[vgprValuB_X1_I0+0+0+0], v[vgprValuA_X1_I0+2+0+0+1], a[76:79]
 // Ci += Ai*Br
/*  mfmaIndex:82  */
/* localReadsVacancy: latencyLeft 5 */
v_mfma_f32_16x16x4_f32 a[4+0:7+0], v[vgprValuB_X1_I0+0+0+0+1], v85, a[4:7]
 // Cr += -Ai*Bi
/*  mfmaIndex:83  */
/* localReadsVacancy: latencyLeft 5 */
v_mfma_f32_16x16x4_f32 a[76+0:79+0], v[vgprValuB_X1_I0+0+0+0+1], v[vgprValuA_X1_I0+2+0+0], a[76:79]
 // Ci += Ar*Bi
/*  mfmaIndex:84  */
/* localReadsVacancy: latencyLeft 5 */
v_mfma_f32_16x16x4_f32 a[40+0:43+0], v[vgprValuB_X1_I0+2+0+0], v[vgprValuA_X1_I0+2+0+0], a[40:43]
 // Cr += Ar*Br
/*  mfmaIndex:85  */
/* localReadsVacancy: latencyLeft 5 */
v_mfma_f32_16x16x4_f32 a[112+0:115+0], v[vgprValuB_X1_I0+2+0+0], v[vgprValuA_X1_I0+2+0+0+1], a[112:115]
 // Ci += Ai*Br
/*  mfmaIndex:86  */
/* localReadsVacancy: latencyLeft 5 */
v_mfma_f32_16x16x4_f32 a[40+0:43+0], v[vgprValuB_X1_I0+2+0+0+1], v85, a[40:43]
 // Cr += -Ai*Bi
/*  mfmaIndex:87  */
/* localReadsVacancy: latencyLeft 5 */
v_mfma_f32_16x16x4_f32 a[112+0:115+0], v[vgprValuB_X1_I0+2+0+0+1], v[vgprValuA_X1_I0+2+0+0], a[112:115]
 // Ci += Ar*Bi
/*  mfmaIndex:88  */
/* localReadsVacancy: latencyLeft 5 */
v_add_f32 v85, -v[vgprValuA_X1_I0+4+0+0+1], 0      // Ai=-Ai
v_mfma_f32_16x16x4_f32 a[8+0:11+0], v[vgprValuB_X1_I0+0+0+0], v[vgprValuA_X1_I0+4+0+0], a[8:11]
 // Cr += Ar*Br
/*  mfmaIndex:89  */
/* localReadsVacancy: latencyLeft 5 */
v_mfma_f32_16x16x4_f32 a[80+0:83+0], v[vgprValuB_X1_I0+0+0+0], v[vgprValuA_X1_I0+4+0+0+1], a[80:83]
 // Ci += Ai*Br
/*  mfmaIndex:90  */
/* localReadsVacancy: latencyLeft 5 */
v_mfma_f32_16x16x4_f32 a[8+0:11+0], v[vgprValuB_X1_I0+0+0+0+1], v85, a[8:11]
 // Cr += -Ai*Bi
/*  mfmaIndex:91  */
/* localReadsVacancy: latencyLeft 5 */
v_mfma_f32_16x16x4_f32 a[80+0:83+0], v[vgprValuB_X1_I0+0+0+0+1], v[vgprValuA_X1_I0+4+0+0], a[80:83]
 // Ci += Ar*Bi
/*  mfmaIndex:92  */
/* localReadsVacancy: latencyLeft 5 */
v_mfma_f32_16x16x4_f32 a[44+0:47+0], v[vgprValuB_X1_I0+2+0+0], v[vgprValuA_X1_I0+4+0+0], a[44:47]
 // Cr += Ar*Br
/*  mfmaIndex:93  */
	;; [unrolled: 33-line block ×4, first 2 shown]
/* localReadsVacancy: latencyLeft 5 */
v_mfma_f32_16x16x4_f32 a[124+0:127+0], v[vgprValuB_X1_I0+2+0+0], v[vgprValuA_X1_I0+8+0+0+1], a[124:127]
 // Ci += Ai*Br
/*  mfmaIndex:110  */
/* localReadsVacancy: latencyLeft 5 */
v_mfma_f32_16x16x4_f32 a[52+0:55+0], v[vgprValuB_X1_I0+2+0+0+1], v85, a[52:55]
 // Cr += -Ai*Bi
/*  mfmaIndex:111  */
/* localReadsVacancy: latencyLeft 5 */
v_mfma_f32_16x16x4_f32 a[124+0:127+0], v[vgprValuB_X1_I0+2+0+0+1], v[vgprValuA_X1_I0+8+0+0], a[124:127]
 // Ci += Ar*Bi
/*  mfmaIndex:112  */
/* localReadsVacancy: latencyLeft 5 */
v_add_f32 v85, -v[vgprValuA_X1_I0+10+0+0+1], 0     // Ai=-Ai
v_mfma_f32_16x16x4_f32 a[20+0:23+0], v[vgprValuB_X1_I0+0+0+0], v[vgprValuA_X1_I0+10+0+0], a[20:23]
 // Cr += Ar*Br
/*  mfmaIndex:113  */
/* localReadsVacancy: latencyLeft 5 */
v_mfma_f32_16x16x4_f32 a[92+0:95+0], v[vgprValuB_X1_I0+0+0+0], v[vgprValuA_X1_I0+10+0+0+1], a[92:95]
 // Ci += Ai*Br
/*  mfmaIndex:114  */
/* localReadsVacancy: latencyLeft 5 */
v_mfma_f32_16x16x4_f32 a[20+0:23+0], v[vgprValuB_X1_I0+0+0+0+1], v85, a[20:23]
 // Cr += -Ai*Bi
/*  mfmaIndex:115  */
/* localReadsVacancy: latencyLeft 5 */
v_mfma_f32_16x16x4_f32 a[92+0:95+0], v[vgprValuB_X1_I0+0+0+0+1], v[vgprValuA_X1_I0+10+0+0], a[92:95]
 // Ci += Ar*Bi
/*  mfmaIndex:116  */
/* localReadsVacancy: latencyLeft 5 */
v_mfma_f32_16x16x4_f32 a[56+0:59+0], v[vgprValuB_X1_I0+2+0+0], v[vgprValuA_X1_I0+10+0+0], a[56:59]
 // Cr += Ar*Br
/*  mfmaIndex:117  */
/* localReadsVacancy: latencyLeft 5 */
v_mfma_f32_16x16x4_f32 a[128+0:131+0], v[vgprValuB_X1_I0+2+0+0], v[vgprValuA_X1_I0+10+0+0+1], a[128:131]
 // Ci += Ai*Br
/*  mfmaIndex:118  */
/* localReadsVacancy: latencyLeft 5 */
v_mfma_f32_16x16x4_f32 a[56+0:59+0], v[vgprValuB_X1_I0+2+0+0+1], v85, a[56:59]
 // Cr += -Ai*Bi
/*  mfmaIndex:119  */
/* localReadsVacancy: latencyLeft 5 */
v_mfma_f32_16x16x4_f32 a[128+0:131+0], v[vgprValuB_X1_I0+2+0+0+1], v[vgprValuA_X1_I0+10+0+0], a[128:131]
 // Ci += Ar*Bi
/*  mfmaIndex:120  */
/* localReadsVacancy: latencyLeft 5 */
v_add_f32 v85, -v[vgprValuA_X1_I0+12+0+0+1], 0     // Ai=-Ai
v_mfma_f32_16x16x4_f32 a[24+0:27+0], v[vgprValuB_X1_I0+0+0+0], v[vgprValuA_X1_I0+12+0+0], a[24:27]
 // Cr += Ar*Br
/*  mfmaIndex:121  */
/* localReadsVacancy: latencyLeft 5 */
v_mfma_f32_16x16x4_f32 a[96+0:99+0], v[vgprValuB_X1_I0+0+0+0], v[vgprValuA_X1_I0+12+0+0+1], a[96:99]
 // Ci += Ai*Br
/*  mfmaIndex:122  */
/* localReadsVacancy: latencyLeft 5 */
v_mfma_f32_16x16x4_f32 a[24+0:27+0], v[vgprValuB_X1_I0+0+0+0+1], v85, a[24:27]
 // Cr += -Ai*Bi
/*  mfmaIndex:123  */
/* localReadsVacancy: latencyLeft 5 */
v_mfma_f32_16x16x4_f32 a[96+0:99+0], v[vgprValuB_X1_I0+0+0+0+1], v[vgprValuA_X1_I0+12+0+0], a[96:99]
 // Ci += Ar*Bi
/*  mfmaIndex:124  */
/* localReadsVacancy: latencyLeft 5 */
v_mfma_f32_16x16x4_f32 a[60+0:63+0], v[vgprValuB_X1_I0+2+0+0], v[vgprValuA_X1_I0+12+0+0], a[60:63]
 // Cr += Ar*Br
/*  mfmaIndex:125  */
	;; [unrolled: 33-line block ×4, first 2 shown]
/* localReadsVacancy: latencyLeft 5 */
v_mfma_f32_16x16x4_f32 a[140+0:143+0], v[vgprValuB_X1_I0+2+0+0], v[vgprValuA_X1_I0+16+0+0+1], a[140:143]
 // Ci += Ai*Br
/*  mfmaIndex:142  */
/* localReadsVacancy: latencyLeft 5 */
v_mfma_f32_16x16x4_f32 a[68+0:71+0], v[vgprValuB_X1_I0+2+0+0+1], v85, a[68:71]
 // Cr += -Ai*Bi
/*  mfmaIndex:143  */
/* localReadsVacancy: latencyLeft 5 */
v_mfma_f32_16x16x4_f32 a[140+0:143+0], v[vgprValuB_X1_I0+2+0+0+1], v[vgprValuA_X1_I0+16+0+0], a[140:143]
 // Ci += Ar*Bi
/* numPrefetchIter=0 */
/* dataAtIterA=0 numReadsIterA=2 skipReadsIterA=1 readsPerIterA=9 */
/* dataAtIterB=0 numReadsIterB=2 skipReadsIterB=1 readsPerIterB=2 */


/* iter 2 (last unrolled loop) */

/*  grEndMfmaIndex:0, lwStartMfmaIndex:277, lwEndMfmaIndex:277  */
/*  numMfmaForLR:8, barrierMfmaIndex:279, LocalWritePerMfma:0.100 */
/*  mfmaIndex:144  */
_ds_load_b64 v[vgprValuA_X1_I0+0:vgprValuA_X1_I0+0+1], v[vgprLocalReadAddrA] offset:96 // L -> Reg lro=12 swapByteOffset=0 ti=16 vIdx=0 rIdx=0 oIdx=0 buffer=1 iui=0
_ds_load_b64 v[vgprValuB_X1_I0+0:vgprValuB_X1_I0+0+1], v[vgprLocalReadAddrB] offset:96 // L -> Reg lro=12 swapByteOffset=0 ti=64 vIdx=0 rIdx=0 oIdx=0 buffer=1 iui=0
s_waitcnt lgkmcnt(2)                               // lgkmcnt=0 vmcnt=-1wait for prior local read local write old=0, new=2 newLW=0 newLR=2
v_add_f32 v85, -v[vgprValuA_X0_I0+0+0+0+1], 0      // Ai=-Ai
v_mfma_f32_16x16x4_f32 a[0+0:3+0], v[vgprValuB_X0_I0+0+0+0], v[vgprValuA_X0_I0+0+0+0], a[0:3]
 // Cr += Ar*Br
/*  mfmaIndex:145  */
_ds_load_b64 v[vgprValuA_X1_I0+2:vgprValuA_X1_I0+2+1], v[vgprLocalReadAddrA] offset:2272 // L -> Reg lro=12 swapByteOffset=0 ti=16 vIdx=1 rIdx=0 oIdx=0 buffer=1 iui=0
_ds_load_b64 v[vgprValuA_X1_I0+4:vgprValuA_X1_I0+4+1], v[vgprLocalReadAddrA] offset:4448 // L -> Reg lro=12 swapByteOffset=0 ti=16 vIdx=2 rIdx=0 oIdx=0 buffer=1 iui=0
v_mfma_f32_16x16x4_f32 a[72+0:75+0], v[vgprValuB_X0_I0+0+0+0], v[vgprValuA_X0_I0+0+0+0+1], a[72:75]
 // Ci += Ai*Br
/*  mfmaIndex:146  */
_ds_load_b64 v[vgprValuA_X1_I0+6:vgprValuA_X1_I0+6+1], v[vgprLocalReadAddrA] offset:6624 // L -> Reg lro=12 swapByteOffset=0 ti=16 vIdx=3 rIdx=0 oIdx=0 buffer=1 iui=0
_ds_load_b64 v[vgprValuA_X1_I0+8:vgprValuA_X1_I0+8+1], v[vgprLocalReadAddrA] offset:8800 // L -> Reg lro=12 swapByteOffset=0 ti=16 vIdx=4 rIdx=0 oIdx=0 buffer=1 iui=0
v_mfma_f32_16x16x4_f32 a[0+0:3+0], v[vgprValuB_X0_I0+0+0+0+1], v85, a[0:3]
 // Cr += -Ai*Bi
/*  mfmaIndex:147  */
_ds_load_b64 v[vgprValuA_X1_I0+10:vgprValuA_X1_I0+10+1], v[vgprLocalReadAddrA] offset:10976 // L -> Reg lro=12 swapByteOffset=0 ti=16 vIdx=5 rIdx=0 oIdx=0 buffer=1 iui=0
_ds_load_b64 v[vgprValuA_X1_I0+12:vgprValuA_X1_I0+12+1], v[vgprLocalReadAddrA] offset:13152 // L -> Reg lro=12 swapByteOffset=0 ti=16 vIdx=6 rIdx=0 oIdx=0 buffer=1 iui=0
v_mfma_f32_16x16x4_f32 a[72+0:75+0], v[vgprValuB_X0_I0+0+0+0+1], v[vgprValuA_X0_I0+0+0+0], a[72:75]
 // Ci += Ar*Bi
/*  mfmaIndex:148  */
_ds_load_b64 v[vgprValuA_X1_I0+14:vgprValuA_X1_I0+14+1], v[vgprLocalReadAddrA] offset:15328 // L -> Reg lro=12 swapByteOffset=0 ti=16 vIdx=7 rIdx=0 oIdx=0 buffer=1 iui=0
_ds_load_b64 v[vgprValuA_X1_I0+16:vgprValuA_X1_I0+16+1], v[vgprLocalReadAddrA] offset:17504 // L -> Reg lro=12 swapByteOffset=0 ti=16 vIdx=8 rIdx=0 oIdx=0 buffer=1 iui=0
v_mfma_f32_16x16x4_f32 a[36+0:39+0], v[vgprValuB_X0_I0+2+0+0], v[vgprValuA_X0_I0+0+0+0], a[36:39]
 // Cr += Ar*Br
/*  mfmaIndex:149  */
_ds_load_b64 v[vgprValuB_X1_I0+2:vgprValuB_X1_I0+2+1], v[vgprLocalReadAddrB] offset:9312 // L -> Reg lro=12 swapByteOffset=0 ti=64 vIdx=1 rIdx=0 oIdx=0 buffer=1 iui=0
/* localReadsVacancy: latencyLeft 3 */
v_mfma_f32_16x16x4_f32 a[108+0:111+0], v[vgprValuB_X0_I0+2+0+0], v[vgprValuA_X0_I0+0+0+0+1], a[108:111]
 // Ci += Ai*Br
/*  mfmaIndex:150  */
/* localReadsVacancy: latencyLeft 5 */
v_mfma_f32_16x16x4_f32 a[36+0:39+0], v[vgprValuB_X0_I0+2+0+0+1], v85, a[36:39]
 // Cr += -Ai*Bi
/*  mfmaIndex:151  */
/* localReadsVacancy: latencyLeft 5 */
v_mfma_f32_16x16x4_f32 a[108+0:111+0], v[vgprValuB_X0_I0+2+0+0+1], v[vgprValuA_X0_I0+0+0+0], a[108:111]
 // Ci += Ar*Bi
/*  mfmaIndex:152  */
/* localReadsVacancy: latencyLeft 5 */
v_add_f32 v85, -v[vgprValuA_X0_I0+2+0+0+1], 0      // Ai=-Ai
v_mfma_f32_16x16x4_f32 a[4+0:7+0], v[vgprValuB_X0_I0+0+0+0], v[vgprValuA_X0_I0+2+0+0], a[4:7]
 // Cr += Ar*Br
/*  mfmaIndex:153  */
/* localReadsVacancy: latencyLeft 5 */
v_mfma_f32_16x16x4_f32 a[76+0:79+0], v[vgprValuB_X0_I0+0+0+0], v[vgprValuA_X0_I0+2+0+0+1], a[76:79]
 // Ci += Ai*Br
/*  mfmaIndex:154  */
/* localReadsVacancy: latencyLeft 5 */
v_mfma_f32_16x16x4_f32 a[4+0:7+0], v[vgprValuB_X0_I0+0+0+0+1], v85, a[4:7]
 // Cr += -Ai*Bi
/*  mfmaIndex:155  */
/* localReadsVacancy: latencyLeft 5 */
v_mfma_f32_16x16x4_f32 a[76+0:79+0], v[vgprValuB_X0_I0+0+0+0+1], v[vgprValuA_X0_I0+2+0+0], a[76:79]
 // Ci += Ar*Bi
/*  mfmaIndex:156  */
/* localReadsVacancy: latencyLeft 5 */
v_mfma_f32_16x16x4_f32 a[40+0:43+0], v[vgprValuB_X0_I0+2+0+0], v[vgprValuA_X0_I0+2+0+0], a[40:43]
 // Cr += Ar*Br
/*  mfmaIndex:157  */
/* localReadsVacancy: latencyLeft 5 */
v_mfma_f32_16x16x4_f32 a[112+0:115+0], v[vgprValuB_X0_I0+2+0+0], v[vgprValuA_X0_I0+2+0+0+1], a[112:115]
 // Ci += Ai*Br
/*  mfmaIndex:158  */
/* localReadsVacancy: latencyLeft 5 */
v_mfma_f32_16x16x4_f32 a[40+0:43+0], v[vgprValuB_X0_I0+2+0+0+1], v85, a[40:43]
 // Cr += -Ai*Bi
/*  mfmaIndex:159  */
/* localReadsVacancy: latencyLeft 5 */
v_mfma_f32_16x16x4_f32 a[112+0:115+0], v[vgprValuB_X0_I0+2+0+0+1], v[vgprValuA_X0_I0+2+0+0], a[112:115]
 // Ci += Ar*Bi
/*  mfmaIndex:160  */
/* localReadsVacancy: latencyLeft 5 */
v_add_f32 v85, -v[vgprValuA_X0_I0+4+0+0+1], 0      // Ai=-Ai
v_mfma_f32_16x16x4_f32 a[8+0:11+0], v[vgprValuB_X0_I0+0+0+0], v[vgprValuA_X0_I0+4+0+0], a[8:11]
 // Cr += Ar*Br
/*  mfmaIndex:161  */
/* localReadsVacancy: latencyLeft 5 */
v_mfma_f32_16x16x4_f32 a[80+0:83+0], v[vgprValuB_X0_I0+0+0+0], v[vgprValuA_X0_I0+4+0+0+1], a[80:83]
 // Ci += Ai*Br
/*  mfmaIndex:162  */
/* localReadsVacancy: latencyLeft 5 */
v_mfma_f32_16x16x4_f32 a[8+0:11+0], v[vgprValuB_X0_I0+0+0+0+1], v85, a[8:11]
 // Cr += -Ai*Bi
/*  mfmaIndex:163  */
/* localReadsVacancy: latencyLeft 5 */
v_mfma_f32_16x16x4_f32 a[80+0:83+0], v[vgprValuB_X0_I0+0+0+0+1], v[vgprValuA_X0_I0+4+0+0], a[80:83]
 // Ci += Ar*Bi
/*  mfmaIndex:164  */
/* localReadsVacancy: latencyLeft 5 */
v_mfma_f32_16x16x4_f32 a[44+0:47+0], v[vgprValuB_X0_I0+2+0+0], v[vgprValuA_X0_I0+4+0+0], a[44:47]
 // Cr += Ar*Br
/*  mfmaIndex:165  */
	;; [unrolled: 33-line block ×4, first 2 shown]
/* localReadsVacancy: latencyLeft 5 */
v_mfma_f32_16x16x4_f32 a[124+0:127+0], v[vgprValuB_X0_I0+2+0+0], v[vgprValuA_X0_I0+8+0+0+1], a[124:127]
 // Ci += Ai*Br
/*  mfmaIndex:182  */
/* localReadsVacancy: latencyLeft 5 */
v_mfma_f32_16x16x4_f32 a[52+0:55+0], v[vgprValuB_X0_I0+2+0+0+1], v85, a[52:55]
 // Cr += -Ai*Bi
/*  mfmaIndex:183  */
/* localReadsVacancy: latencyLeft 5 */
v_mfma_f32_16x16x4_f32 a[124+0:127+0], v[vgprValuB_X0_I0+2+0+0+1], v[vgprValuA_X0_I0+8+0+0], a[124:127]
 // Ci += Ar*Bi
/*  mfmaIndex:184  */
/* localReadsVacancy: latencyLeft 5 */
v_add_f32 v85, -v[vgprValuA_X0_I0+10+0+0+1], 0     // Ai=-Ai
v_mfma_f32_16x16x4_f32 a[20+0:23+0], v[vgprValuB_X0_I0+0+0+0], v[vgprValuA_X0_I0+10+0+0], a[20:23]
 // Cr += Ar*Br
/*  mfmaIndex:185  */
/* localReadsVacancy: latencyLeft 5 */
v_mfma_f32_16x16x4_f32 a[92+0:95+0], v[vgprValuB_X0_I0+0+0+0], v[vgprValuA_X0_I0+10+0+0+1], a[92:95]
 // Ci += Ai*Br
/*  mfmaIndex:186  */
/* localReadsVacancy: latencyLeft 5 */
v_mfma_f32_16x16x4_f32 a[20+0:23+0], v[vgprValuB_X0_I0+0+0+0+1], v85, a[20:23]
 // Cr += -Ai*Bi
/*  mfmaIndex:187  */
/* localReadsVacancy: latencyLeft 5 */
v_mfma_f32_16x16x4_f32 a[92+0:95+0], v[vgprValuB_X0_I0+0+0+0+1], v[vgprValuA_X0_I0+10+0+0], a[92:95]
 // Ci += Ar*Bi
/*  mfmaIndex:188  */
/* localReadsVacancy: latencyLeft 5 */
v_mfma_f32_16x16x4_f32 a[56+0:59+0], v[vgprValuB_X0_I0+2+0+0], v[vgprValuA_X0_I0+10+0+0], a[56:59]
 // Cr += Ar*Br
/*  mfmaIndex:189  */
/* localReadsVacancy: latencyLeft 5 */
v_mfma_f32_16x16x4_f32 a[128+0:131+0], v[vgprValuB_X0_I0+2+0+0], v[vgprValuA_X0_I0+10+0+0+1], a[128:131]
 // Ci += Ai*Br
/*  mfmaIndex:190  */
/* localReadsVacancy: latencyLeft 5 */
v_mfma_f32_16x16x4_f32 a[56+0:59+0], v[vgprValuB_X0_I0+2+0+0+1], v85, a[56:59]
 // Cr += -Ai*Bi
/*  mfmaIndex:191  */
/* localReadsVacancy: latencyLeft 5 */
v_mfma_f32_16x16x4_f32 a[128+0:131+0], v[vgprValuB_X0_I0+2+0+0+1], v[vgprValuA_X0_I0+10+0+0], a[128:131]
 // Ci += Ar*Bi
/*  mfmaIndex:192  */
/* localReadsVacancy: latencyLeft 5 */
v_add_f32 v85, -v[vgprValuA_X0_I0+12+0+0+1], 0     // Ai=-Ai
v_mfma_f32_16x16x4_f32 a[24+0:27+0], v[vgprValuB_X0_I0+0+0+0], v[vgprValuA_X0_I0+12+0+0], a[24:27]
 // Cr += Ar*Br
/*  mfmaIndex:193  */
/* localReadsVacancy: latencyLeft 5 */
v_mfma_f32_16x16x4_f32 a[96+0:99+0], v[vgprValuB_X0_I0+0+0+0], v[vgprValuA_X0_I0+12+0+0+1], a[96:99]
 // Ci += Ai*Br
/*  mfmaIndex:194  */
/* localReadsVacancy: latencyLeft 5 */
v_mfma_f32_16x16x4_f32 a[24+0:27+0], v[vgprValuB_X0_I0+0+0+0+1], v85, a[24:27]
 // Cr += -Ai*Bi
/*  mfmaIndex:195  */
/* localReadsVacancy: latencyLeft 5 */
v_mfma_f32_16x16x4_f32 a[96+0:99+0], v[vgprValuB_X0_I0+0+0+0+1], v[vgprValuA_X0_I0+12+0+0], a[96:99]
 // Ci += Ar*Bi
/*  mfmaIndex:196  */
/* localReadsVacancy: latencyLeft 5 */
v_mfma_f32_16x16x4_f32 a[60+0:63+0], v[vgprValuB_X0_I0+2+0+0], v[vgprValuA_X0_I0+12+0+0], a[60:63]
 // Cr += Ar*Br
/*  mfmaIndex:197  */
	;; [unrolled: 33-line block ×4, first 2 shown]
/* localReadsVacancy: latencyLeft 5 */
v_mfma_f32_16x16x4_f32 a[140+0:143+0], v[vgprValuB_X0_I0+2+0+0], v[vgprValuA_X0_I0+16+0+0+1], a[140:143]
 // Ci += Ai*Br
/*  mfmaIndex:214  */
/* localReadsVacancy: latencyLeft 5 */
v_mfma_f32_16x16x4_f32 a[68+0:71+0], v[vgprValuB_X0_I0+2+0+0+1], v85, a[68:71]
 // Cr += -Ai*Bi
/*  mfmaIndex:215  */
/* localReadsVacancy: latencyLeft 5 */
v_mfma_f32_16x16x4_f32 a[140+0:143+0], v[vgprValuB_X0_I0+2+0+0+1], v[vgprValuA_X0_I0+16+0+0], a[140:143]
 // Ci += Ar*Bi
/* numPrefetchIter=0 */
/* dataAtIterA=1 numReadsIterA=3 skipReadsIterA=1 readsPerIterA=9 */
/* dataAtIterB=1 numReadsIterB=3 skipReadsIterB=1 readsPerIterB=2 */


/* iter 3 (last unrolled loop) */

/*  grEndMfmaIndex:0, lwStartMfmaIndex:277, lwEndMfmaIndex:277  */
/*  numMfmaForLR:8, barrierMfmaIndex:279, LocalWritePerMfma:0.100 */
/*  mfmaIndex:216  */
s_waitcnt lgkmcnt(0)                               // lgkmcnt=0 vmcnt=-1wait for prior local read local write old=0, new=0 newLW=0 newLR=0
v_add_f32 v85, -v[vgprValuA_X1_I0+0+0+0+1], 0      // Ai=-Ai
v_mfma_f32_16x16x4_f32 a[0+0:3+0], v[vgprValuB_X1_I0+0+0+0], v[vgprValuA_X1_I0+0+0+0], a[0:3]
 // Cr += Ar*Br
/*  mfmaIndex:217  */
v_mfma_f32_16x16x4_f32 a[72+0:75+0], v[vgprValuB_X1_I0+0+0+0], v[vgprValuA_X1_I0+0+0+0+1], a[72:75]
 // Ci += Ai*Br
/*  mfmaIndex:218  */
v_mfma_f32_16x16x4_f32 a[0+0:3+0], v[vgprValuB_X1_I0+0+0+0+1], v85, a[0:3]
 // Cr += -Ai*Bi
/*  mfmaIndex:219  */
v_mfma_f32_16x16x4_f32 a[72+0:75+0], v[vgprValuB_X1_I0+0+0+0+1], v[vgprValuA_X1_I0+0+0+0], a[72:75]
 // Ci += Ar*Bi
/*  mfmaIndex:220  */
v_mfma_f32_16x16x4_f32 a[36+0:39+0], v[vgprValuB_X1_I0+2+0+0], v[vgprValuA_X1_I0+0+0+0], a[36:39]
 // Cr += Ar*Br
/*  mfmaIndex:221  */
v_mfma_f32_16x16x4_f32 a[108+0:111+0], v[vgprValuB_X1_I0+2+0+0], v[vgprValuA_X1_I0+0+0+0+1], a[108:111]
 // Ci += Ai*Br
/*  mfmaIndex:222  */
v_mfma_f32_16x16x4_f32 a[36+0:39+0], v[vgprValuB_X1_I0+2+0+0+1], v85, a[36:39]
 // Cr += -Ai*Bi
/*  mfmaIndex:223  */
v_mfma_f32_16x16x4_f32 a[108+0:111+0], v[vgprValuB_X1_I0+2+0+0+1], v[vgprValuA_X1_I0+0+0+0], a[108:111]
 // Ci += Ar*Bi
/*  mfmaIndex:224  */
v_add_f32 v85, -v[vgprValuA_X1_I0+2+0+0+1], 0      // Ai=-Ai
v_mfma_f32_16x16x4_f32 a[4+0:7+0], v[vgprValuB_X1_I0+0+0+0], v[vgprValuA_X1_I0+2+0+0], a[4:7]
 // Cr += Ar*Br
/*  mfmaIndex:225  */
v_mfma_f32_16x16x4_f32 a[76+0:79+0], v[vgprValuB_X1_I0+0+0+0], v[vgprValuA_X1_I0+2+0+0+1], a[76:79]
 // Ci += Ai*Br
/*  mfmaIndex:226  */
v_mfma_f32_16x16x4_f32 a[4+0:7+0], v[vgprValuB_X1_I0+0+0+0+1], v85, a[4:7]
 // Cr += -Ai*Bi
/*  mfmaIndex:227  */
v_mfma_f32_16x16x4_f32 a[76+0:79+0], v[vgprValuB_X1_I0+0+0+0+1], v[vgprValuA_X1_I0+2+0+0], a[76:79]
 // Ci += Ar*Bi
/*  mfmaIndex:228  */
v_mfma_f32_16x16x4_f32 a[40+0:43+0], v[vgprValuB_X1_I0+2+0+0], v[vgprValuA_X1_I0+2+0+0], a[40:43]
 // Cr += Ar*Br
/*  mfmaIndex:229  */
v_mfma_f32_16x16x4_f32 a[112+0:115+0], v[vgprValuB_X1_I0+2+0+0], v[vgprValuA_X1_I0+2+0+0+1], a[112:115]
 // Ci += Ai*Br
/*  mfmaIndex:230  */
v_mfma_f32_16x16x4_f32 a[40+0:43+0], v[vgprValuB_X1_I0+2+0+0+1], v85, a[40:43]
 // Cr += -Ai*Bi
/*  mfmaIndex:231  */
v_mfma_f32_16x16x4_f32 a[112+0:115+0], v[vgprValuB_X1_I0+2+0+0+1], v[vgprValuA_X1_I0+2+0+0], a[112:115]
 // Ci += Ar*Bi
/*  mfmaIndex:232  */
	;; [unrolled: 25-line block ×5, first 2 shown]
v_add_f32 v85, -v[vgprValuA_X1_I0+10+0+0+1], 0     // Ai=-Ai
v_mfma_f32_16x16x4_f32 a[20+0:23+0], v[vgprValuB_X1_I0+0+0+0], v[vgprValuA_X1_I0+10+0+0], a[20:23]
 // Cr += Ar*Br
/*  mfmaIndex:257  */
v_mfma_f32_16x16x4_f32 a[92+0:95+0], v[vgprValuB_X1_I0+0+0+0], v[vgprValuA_X1_I0+10+0+0+1], a[92:95]
 // Ci += Ai*Br
/*  mfmaIndex:258  */
v_mfma_f32_16x16x4_f32 a[20+0:23+0], v[vgprValuB_X1_I0+0+0+0+1], v85, a[20:23]
 // Cr += -Ai*Bi
/*  mfmaIndex:259  */
v_mfma_f32_16x16x4_f32 a[92+0:95+0], v[vgprValuB_X1_I0+0+0+0+1], v[vgprValuA_X1_I0+10+0+0], a[92:95]
 // Ci += Ar*Bi
/*  mfmaIndex:260  */
v_mfma_f32_16x16x4_f32 a[56+0:59+0], v[vgprValuB_X1_I0+2+0+0], v[vgprValuA_X1_I0+10+0+0], a[56:59]
 // Cr += Ar*Br
/*  mfmaIndex:261  */
v_mfma_f32_16x16x4_f32 a[128+0:131+0], v[vgprValuB_X1_I0+2+0+0], v[vgprValuA_X1_I0+10+0+0+1], a[128:131]
 // Ci += Ai*Br
/*  mfmaIndex:262  */
v_mfma_f32_16x16x4_f32 a[56+0:59+0], v[vgprValuB_X1_I0+2+0+0+1], v85, a[56:59]
 // Cr += -Ai*Bi
/*  mfmaIndex:263  */
v_mfma_f32_16x16x4_f32 a[128+0:131+0], v[vgprValuB_X1_I0+2+0+0+1], v[vgprValuA_X1_I0+10+0+0], a[128:131]
 // Ci += Ar*Bi
/*  mfmaIndex:264  */
v_add_f32 v85, -v[vgprValuA_X1_I0+12+0+0+1], 0     // Ai=-Ai
v_mfma_f32_16x16x4_f32 a[24+0:27+0], v[vgprValuB_X1_I0+0+0+0], v[vgprValuA_X1_I0+12+0+0], a[24:27]
 // Cr += Ar*Br
/*  mfmaIndex:265  */
v_mfma_f32_16x16x4_f32 a[96+0:99+0], v[vgprValuB_X1_I0+0+0+0], v[vgprValuA_X1_I0+12+0+0+1], a[96:99]
 // Ci += Ai*Br
/*  mfmaIndex:266  */
v_mfma_f32_16x16x4_f32 a[24+0:27+0], v[vgprValuB_X1_I0+0+0+0+1], v85, a[24:27]
 // Cr += -Ai*Bi
/*  mfmaIndex:267  */
v_mfma_f32_16x16x4_f32 a[96+0:99+0], v[vgprValuB_X1_I0+0+0+0+1], v[vgprValuA_X1_I0+12+0+0], a[96:99]
 // Ci += Ar*Bi
/*  mfmaIndex:268  */
v_mfma_f32_16x16x4_f32 a[60+0:63+0], v[vgprValuB_X1_I0+2+0+0], v[vgprValuA_X1_I0+12+0+0], a[60:63]
 // Cr += Ar*Br
/*  mfmaIndex:269  */
v_mfma_f32_16x16x4_f32 a[132+0:135+0], v[vgprValuB_X1_I0+2+0+0], v[vgprValuA_X1_I0+12+0+0+1], a[132:135]
 // Ci += Ai*Br
/*  mfmaIndex:270  */
v_mfma_f32_16x16x4_f32 a[60+0:63+0], v[vgprValuB_X1_I0+2+0+0+1], v85, a[60:63]
 // Cr += -Ai*Bi
/*  mfmaIndex:271  */
v_mfma_f32_16x16x4_f32 a[132+0:135+0], v[vgprValuB_X1_I0+2+0+0+1], v[vgprValuA_X1_I0+12+0+0], a[132:135]
 // Ci += Ar*Bi
/*  mfmaIndex:272  */
v_add_f32 v85, -v[vgprValuA_X1_I0+14+0+0+1], 0     // Ai=-Ai
v_mfma_f32_16x16x4_f32 a[28+0:31+0], v[vgprValuB_X1_I0+0+0+0], v[vgprValuA_X1_I0+14+0+0], a[28:31]
 // Cr += Ar*Br
/*  mfmaIndex:273  */
v_mfma_f32_16x16x4_f32 a[100+0:103+0], v[vgprValuB_X1_I0+0+0+0], v[vgprValuA_X1_I0+14+0+0+1], a[100:103]
 // Ci += Ai*Br
/*  mfmaIndex:274  */
v_mfma_f32_16x16x4_f32 a[28+0:31+0], v[vgprValuB_X1_I0+0+0+0+1], v85, a[28:31]
 // Cr += -Ai*Bi
/*  mfmaIndex:275  */
v_mfma_f32_16x16x4_f32 a[100+0:103+0], v[vgprValuB_X1_I0+0+0+0+1], v[vgprValuA_X1_I0+14+0+0], a[100:103]
 // Ci += Ar*Bi
/*  mfmaIndex:276  */
/* 1 LDS buffer: read-sync-write */
s_waitcnt lgkmcnt(0)                               // 
s_barrier                                          // 
v_mfma_f32_16x16x4_f32 a[64+0:67+0], v[vgprValuB_X1_I0+2+0+0], v[vgprValuA_X1_I0+14+0+0], a[64:67]
 // Cr += Ar*Br
/*  mfmaIndex:277  */
s_setprio 3                                        // store optimization
v_mfma_f32_16x16x4_f32 a[136+0:139+0], v[vgprValuB_X1_I0+2+0+0], v[vgprValuA_X1_I0+14+0+0+1], a[136:139]
 // Ci += Ai*Br
/*  mfmaIndex:278  */
v_mfma_f32_16x16x4_f32 a[64+0:67+0], v[vgprValuB_X1_I0+2+0+0+1], v85, a[64:67]
 // Cr += -Ai*Bi
s_setprio 0                                        // store optimization
/*  mfmaIndex:279  */
v_mfma_f32_16x16x4_f32 a[136+0:139+0], v[vgprValuB_X1_I0+2+0+0+1], v[vgprValuA_X1_I0+14+0+0], a[136:139]
 // Ci += Ar*Bi
/*  mfmaIndex:280  */
s_setprio 3                                        // store optimization
v_add_f32 v85, -v[vgprValuA_X1_I0+16+0+0+1], 0     // Ai=-Ai
v_mfma_f32_16x16x4_f32 a[32+0:35+0], v[vgprValuB_X1_I0+0+0+0], v[vgprValuA_X1_I0+16+0+0], a[32:35]
 // Cr += Ar*Br
/*  mfmaIndex:281  */
v_mfma_f32_16x16x4_f32 a[104+0:107+0], v[vgprValuB_X1_I0+0+0+0], v[vgprValuA_X1_I0+16+0+0+1], a[104:107]
 // Ci += Ai*Br
/*  mfmaIndex:282  */
v_mfma_f32_16x16x4_f32 a[32+0:35+0], v[vgprValuB_X1_I0+0+0+0+1], v85, a[32:35]
 // Cr += -Ai*Bi
/*  mfmaIndex:283  */
v_mfma_f32_16x16x4_f32 a[104+0:107+0], v[vgprValuB_X1_I0+0+0+0+1], v[vgprValuA_X1_I0+16+0+0], a[104:107]
 // Ci += Ar*Bi
/*  mfmaIndex:284  */
v_mfma_f32_16x16x4_f32 a[68+0:71+0], v[vgprValuB_X1_I0+2+0+0], v[vgprValuA_X1_I0+16+0+0], a[68:71]
 // Cr += Ar*Br
/*  mfmaIndex:285  */
v_mfma_f32_16x16x4_f32 a[140+0:143+0], v[vgprValuB_X1_I0+2+0+0], v[vgprValuA_X1_I0+16+0+0+1], a[140:143]
 // Ci += Ai*Br
/*  mfmaIndex:286  */
v_mfma_f32_16x16x4_f32 a[68+0:71+0], v[vgprValuB_X1_I0+2+0+0+1], v85, a[68:71]
 // Cr += -Ai*Bi
/*  mfmaIndex:287  */
v_mfma_f32_16x16x4_f32 a[140+0:143+0], v[vgprValuB_X1_I0+2+0+0+1], v[vgprValuA_X1_I0+16+0+0], a[140:143]
 // Ci += Ar*Bi
/* numPrefetchIter=0 */
/* dataAtIterA=2 numReadsIterA=3 skipReadsIterA=0 readsPerIterA=9 */
/* dataAtIterB=2 numReadsIterB=3 skipReadsIterB=0 readsPerIterB=2 */

PrefetchGlobalLastIterEnd_5:


/******************************************/
/* Tail Loop                              */
/******************************************/


/* local write reset offsets a */


	;; [unrolled: 1-line block ×4, first 2 shown]
/* local write reset offsets b */


	;; [unrolled: 1-line block ×4, first 2 shown]
//numIterL = (((sizeL % LOCAL_DEPTHU) + LOCAL_SPLITU - 1) / LOCAL_SPLITU)
s_and_b32 s[sgprLoopCounterL], 15, s[sgprSizesSum+0] // s[sgprLoopCounterL] = s[sgprSizesSum+0] % 16
s_cmp_eq_u32 s[sgprLoopCounterL], 0x0              // numIterL == 0
s_cbranch_scc1 SkipTailLoopL_8                     // skip to end of tail loop b/c numIter==0
s_mov_b32 s[sgprOrigLoopCounter], 0                // repurpose to count each localRead increment


/* remove stagger offsets for tail loop */

s_mov_b32 s74, 3                                   // 
s_mul_hi_u32 s73, s74, s[sgprGlobalReadIncsA+0]    // 3 * GlobalReadIncs
s_mul_i32 s72, s74, s[sgprGlobalReadIncsA+0]       // 3 * GlobalReadIncs
s_mul_hi_u32 s75, s[sgprStaggerUIter], s[sgprGlobalReadIncsA+0] // StaggerUIter * GlobalReadIncs
s_mul_i32 s74, s[sgprStaggerUIter], s[sgprGlobalReadIncsA+0] // StaggerUIter * GlobalReadIncs
s_sub_u32 s72, s72, s74                            // start offset S in bytes
s_subb_u32 s73, s73, s75                           // start offset S in bytes
s_sub_u32 s72, s72, s[sgprWrapUA]                  // S - WrapU
s_subb_u32 s73, s73, s[sgprWrapUA+1]               // S - WrapU
s_add_u32 s[sgprSrdA+0], s[sgprSrdA+0], s72        // gra SRD += inc(lower)
s_addc_u32  s[sgprSrdA+1], s[sgprSrdA+1], s73      // gra SRD += inc(upper)
s_sub_u32 s[sgprShadowLimitA+0], s[sgprShadowLimitA+0], s72 // limit -= inc)
s_subb_u32 s[sgprShadowLimitA+1], s[sgprShadowLimitA+1], s73 // limit -= inc)
s_cmp_eq_u32 s[sgprShadowLimitA+1], 0              // are we within 2^32?
s_cselect_b32 s[sgprSrdA+2], s[sgprShadowLimitA+0], BufferLimitA // Move shadow to real if we are within 2^32

s_mov_b32 s74, 3                                   // 
s_mul_hi_u32 s73, s74, s[sgprGlobalReadIncsB+0]    // 3 * GlobalReadIncs
s_mul_i32 s72, s74, s[sgprGlobalReadIncsB+0]       // 3 * GlobalReadIncs
s_mul_hi_u32 s75, s[sgprStaggerUIter], s[sgprGlobalReadIncsB+0] // StaggerUIter * GlobalReadIncs
s_mul_i32 s74, s[sgprStaggerUIter], s[sgprGlobalReadIncsB+0] // StaggerUIter * GlobalReadIncs
s_sub_u32 s72, s72, s74                            // start offset S in bytes
s_subb_u32 s73, s73, s75                           // start offset S in bytes
s_sub_u32 s72, s72, s[sgprWrapUB]                  // S - WrapU
s_subb_u32 s73, s73, s[sgprWrapUB+1]               // S - WrapU
s_add_u32 s[sgprSrdB+0], s[sgprSrdB+0], s72        // gra SRD += inc(lower)
s_addc_u32  s[sgprSrdB+1], s[sgprSrdB+1], s73      // gra SRD += inc(upper)
s_sub_u32 s[sgprShadowLimitB+0], s[sgprShadowLimitB+0], s72 // limit -= inc)
s_subb_u32 s[sgprShadowLimitB+1], s[sgprShadowLimitB+1], s73 // limit -= inc)
s_cmp_eq_u32 s[sgprShadowLimitB+1], 0              // are we within 2^32?
s_cselect_b32 s[sgprSrdB+2], s[sgprShadowLimitB+0], BufferLimitB // Move shadow to real if we are within 2^32


/* Update M0 for DTLDS */


	;; [unrolled: 1-line block ×3, first 2 shown]
/* global read a */

/* g2l=0, load component 0 */
_buffer_load_b64 v[vgprG2LA+0+0:vgprG2LA+0+0+1], v[vgprGlobalReadOffsetA+0], s[sgprSrdA:sgprSrdA+3], 0, offen offset:0 // load one buffer value
/* g2l=2, load component 0 */
_buffer_load_b64 v[vgprG2LA+2+0:vgprG2LA+2+0+1], v[vgprGlobalReadOffsetA+0], s[sgprSrdA:sgprSrdA+3], s[sgprScalarGlobalReadOffsetA+0], offen offset:0 // load one buffer value
/* g2l=4, load component 0 */
_buffer_load_b64 v[vgprG2LA+4+0:vgprG2LA+4+0+1], v[vgprGlobalReadOffsetA+0], s[sgprSrdA:sgprSrdA+3], s[sgprScalarGlobalReadOffsetA+1], offen offset:0 // load one buffer value
	;; [unrolled: 2-line block ×8, first 2 shown]


/* Update M0 for DTLDS */


	;; [unrolled: 1-line block ×3, first 2 shown]
/* global read b */

/* g2l=0, load component 0 */
_buffer_load_b64 v[vgprG2LB+0+0:vgprG2LB+0+0+1], v[vgprGlobalReadOffsetB+0], s[sgprSrdB:sgprSrdB+3], 0, offen offset:0 // load one buffer value
/* g2l=0, load component 1 */
_buffer_load_b64 v[vgprG2LB+0+2:vgprG2LB+0+2+1], v[vgprGlobalReadOffsetB+0], s[sgprSrdB:sgprSrdB+3], 0, offen offset:8 // load one buffer value
/* g2l=4, load component 0 */
_buffer_load_b64 v[vgprG2LB+4+0:vgprG2LB+4+0+1], v[vgprGlobalReadOffsetB+0], s[sgprSrdB:sgprSrdB+3], s[sgprScalarGlobalReadOffsetB+0], offen offset:0 // load one buffer value
/* g2l=4, load component 1 */
_buffer_load_b64 v[vgprG2LB+4+2:vgprG2LB+4+2+1], v[vgprGlobalReadOffsetB+0], s[sgprSrdB:sgprSrdB+3], s[sgprScalarGlobalReadOffsetB+0], offen offset:8 // load one buffer value
	;; [unrolled: 2-line block ×6, first 2 shown]

s_waitcnt vmcnt(0)                                 // lgkmcnt=-1 vmcnt=02wait for global read

// Skip force waitcnt0
s_barrier //


/* Done global A/B reads */


	;; [unrolled: 1-line block ×4, first 2 shown]
/* local write a */

_ds_store_b64 v[vgprLocalWriteAddrA], v[vgprG2LA+0:vgprG2LA+0+1] offset:0 // lwoA_0_0_0_0 = (0*LSCA)*(MT0I+PAD) + (0*LSPA) = 0
_ds_store_b64 v[vgprLocalWriteAddrA], v[vgprG2LA+2:vgprG2LA+2+1] offset:2176 // lwoA_0_0_1_0 = (0*LSCA)*(MT0I+PAD) + (1*LSPA) = 2176
_ds_store_b64 v[vgprLocalWriteAddrA], v[vgprG2LA+4:vgprG2LA+4+1] offset:4352 // lwoA_0_0_2_0 = (0*LSCA)*(MT0I+PAD) + (2*LSPA) = 4352
_ds_store_b64 v[vgprLocalWriteAddrA], v[vgprG2LA+6:vgprG2LA+6+1] offset:6528 // lwoA_0_0_3_0 = (0*LSCA)*(MT0I+PAD) + (3*LSPA) = 6528
_ds_store_b64 v[vgprLocalWriteAddrA], v[vgprG2LA+8:vgprG2LA+8+1] offset:8704 // lwoA_0_0_4_0 = (0*LSCA)*(MT0I+PAD) + (4*LSPA) = 8704
_ds_store_b64 v[vgprLocalWriteAddrA], v[vgprG2LA+10:vgprG2LA+10+1] offset:10880 // lwoA_0_0_5_0 = (0*LSCA)*(MT0I+PAD) + (5*LSPA) = 10880
_ds_store_b64 v[vgprLocalWriteAddrA], v[vgprG2LA+12:vgprG2LA+12+1] offset:13056 // lwoA_0_0_6_0 = (0*LSCA)*(MT0I+PAD) + (6*LSPA) = 13056
_ds_store_b64 v[vgprLocalWriteAddrA], v[vgprG2LA+14:vgprG2LA+14+1] offset:15232 // lwoA_0_0_7_0 = (0*LSCA)*(MT0I+PAD) + (7*LSPA) = 15232
_ds_store_b64 v[vgprLocalWriteAddrA], v[vgprG2LA+16:vgprG2LA+16+1] offset:17408 // lwoA_0_0_8_0 = (0*LSCA)*(MT0I+PAD) + (8*LSPA) = 17408


/* local write b */

_ds_store_b128 v[vgprLocalWriteAddrB], v[vgprG2LB+0:vgprG2LB+0+3] offset:0 // lwoB_0_0_0_0 = (0*LSCB)*(MT1J+PAD) + (0*LSPB) = 0
_ds_store_b128 v[vgprLocalWriteAddrB], v[vgprG2LB+4:vgprG2LB+4+3] offset:4608 // lwoB_0_0_1_0 = (0*LSCB)*(MT1J+PAD) + (1*LSPB) = 4608
_ds_store_b128 v[vgprLocalWriteAddrB], v[vgprG2LB+8:vgprG2LB+8+3] offset:9216 // lwoB_0_0_2_0 = (0*LSCB)*(MT1J+PAD) + (2*LSPB) = 9216
_ds_store_b128 v[vgprLocalWriteAddrB], v[vgprG2LB+12:vgprG2LB+12+3] offset:13824 // lwoB_0_0_3_0 = (0*LSCB)*(MT1J+PAD) + (3*LSPB) = 13824


/* Recalc local read offsets */


s_waitcnt lgkmcnt(0)                               // lgkmcnt=0 vmcnt=-15wait for local write

// Skip force waitcnt0
s_barrier //


/* local read reset offsets a */


	;; [unrolled: 1-line block ×3, first 2 shown]
/* local read reset offsets b */


	;; [unrolled: 1-line block ×3, first 2 shown]
/* local read init pointers a */


/* localReadInitPointers */


/* local read init pointers b */


/* localReadInitPointers */


/* tail loop: macs */

TailLoopBeginL_6:


/* tail loop unroll iter 0 */


/* local read a */

_ds_load_b64 v[vgprValuA_X0_I0+0:vgprValuA_X0_I0+0+1], v[vgprLocalReadAddrA] offset:0 // L -> Reg lro=0 swapByteOffset=0 ti=16 vIdx=0 rIdx=0 oIdx=0 buffer=0 iui=0
_ds_load_b64 v[vgprValuA_X0_I0+2:vgprValuA_X0_I0+2+1], v[vgprLocalReadAddrA] offset:2176 // L -> Reg lro=0 swapByteOffset=0 ti=16 vIdx=1 rIdx=0 oIdx=0 buffer=0 iui=0
	;; [unrolled: 1-line block ×9, first 2 shown]


/* local read b */

_ds_load_b64 v[vgprValuB_X0_I0+0:vgprValuB_X0_I0+0+1], v[vgprLocalReadAddrB] offset:0 // L -> Reg lro=0 swapByteOffset=0 ti=64 vIdx=0 rIdx=0 oIdx=0 buffer=0 iui=0
_ds_load_b64 v[vgprValuB_X0_I0+2:vgprValuB_X0_I0+2+1], v[vgprLocalReadAddrB] offset:9216 // L -> Reg lro=0 swapByteOffset=0 ti=64 vIdx=1 rIdx=0 oIdx=0 buffer=0 iui=0


/* local read inc a */

s_mov_b32 s58, 0x20                                // inc
_v_add_co_u32 v[vgprLocalReadAddrA], vcc, s58, v[vgprLocalReadAddrA] // lrA += 32 (LSU*bpe)


/* local read inc b */

s_mov_b32 s58, 0x20                                // inc
_v_add_co_u32 v[vgprLocalReadAddrB], vcc, s58, v[vgprLocalReadAddrB] // lrB += 32 (LSU*bpe)

s_waitcnt lgkmcnt(0)                               // lgkmcnt=0 vmcnt=-14wait for local read


	;; [unrolled: 1-line block ×3, first 2 shown]
/* tail loop mfma iter 0: numReadsIterCoalescedA=1, numReadsIterCoalescedB=1 */
v_and_b32 v85, 63, v[vgprSerial]                   // v85 = v[vgprSerial] % 64
v_lshrrev_b32 v85, 4, v85                          // v85 = v85 / 16
                                                   // v85 = v85 * 1 (multiplier is 1, do nothing)
v_cmp_ge_i32 s[72:73], v85, s[sgprLoopCounterL]    // check K index >= Size L
v_cndmask_b32 v[vgprValuA_X0_I0+0+0+0+0], v[vgprValuA_X0_I0+0+0+0+0], 0x0, s[72:73] // set 0 if K_idx >= sizeL
v_cndmask_b32 v[vgprValuA_X0_I0+2+0+0+0], v[vgprValuA_X0_I0+2+0+0+0], 0x0, s[72:73] // set 0 if K_idx >= sizeL
	;; [unrolled: 1-line block ×9, first 2 shown]
v_cndmask_b32 v[vgprValuB_X0_I0+0+0+0+0], v[vgprValuB_X0_I0+0+0+0+0], 0x0, s[72:73] // set 0 if K_idx >= sizeL
v_cndmask_b32 v[vgprValuB_X0_I0+2+0+0+0], v[vgprValuB_X0_I0+2+0+0+0], 0x0, s[72:73] // set 0 if K_idx >= sizeL
v_cndmask_b32 v[vgprValuA_X0_I0+0+0+0+1], v[vgprValuA_X0_I0+0+0+0+1], 0x0, s[72:73] // set 0 if K_idx >= sizeL
v_cndmask_b32 v[vgprValuA_X0_I0+2+0+0+1], v[vgprValuA_X0_I0+2+0+0+1], 0x0, s[72:73] // set 0 if K_idx >= sizeL
	;; [unrolled: 1-line block ×9, first 2 shown]
v_cndmask_b32 v[vgprValuB_X0_I0+0+0+0+1], v[vgprValuB_X0_I0+0+0+0+1], 0x0, s[72:73] // set 0 if K_idx >= sizeL
v_cndmask_b32 v[vgprValuB_X0_I0+2+0+0+1], v[vgprValuB_X0_I0+2+0+0+1], 0x0, s[72:73] // set 0 if K_idx >= sizeL
s_nop 1
v_add_f32 v85, -v[vgprValuA_X0_I0+0+0+0+1], 0      // Ai=-Ai
v_mfma_f32_16x16x4_f32 a[0+0:3+0], v[vgprValuB_X0_I0+0+0+0], v[vgprValuA_X0_I0+0+0+0], a[0:3]
 // Cr += Ar*Br
v_mfma_f32_16x16x4_f32 a[72+0:75+0], v[vgprValuB_X0_I0+0+0+0], v[vgprValuA_X0_I0+0+0+0+1], a[72:75]
 // Ci += Ai*Br
v_mfma_f32_16x16x4_f32 a[0+0:3+0], v[vgprValuB_X0_I0+0+0+0+1], v85, a[0:3]
 // Cr += -Ai*Bi
v_mfma_f32_16x16x4_f32 a[72+0:75+0], v[vgprValuB_X0_I0+0+0+0+1], v[vgprValuA_X0_I0+0+0+0], a[72:75]
 // Ci += Ar*Bi
v_mfma_f32_16x16x4_f32 a[36+0:39+0], v[vgprValuB_X0_I0+2+0+0], v[vgprValuA_X0_I0+0+0+0], a[36:39]
 // Cr += Ar*Br
v_mfma_f32_16x16x4_f32 a[108+0:111+0], v[vgprValuB_X0_I0+2+0+0], v[vgprValuA_X0_I0+0+0+0+1], a[108:111]
 // Ci += Ai*Br
v_mfma_f32_16x16x4_f32 a[36+0:39+0], v[vgprValuB_X0_I0+2+0+0+1], v85, a[36:39]
 // Cr += -Ai*Bi
v_mfma_f32_16x16x4_f32 a[108+0:111+0], v[vgprValuB_X0_I0+2+0+0+1], v[vgprValuA_X0_I0+0+0+0], a[108:111]
 // Ci += Ar*Bi
v_add_f32 v85, -v[vgprValuA_X0_I0+2+0+0+1], 0      // Ai=-Ai
v_mfma_f32_16x16x4_f32 a[4+0:7+0], v[vgprValuB_X0_I0+0+0+0], v[vgprValuA_X0_I0+2+0+0], a[4:7]
 // Cr += Ar*Br
v_mfma_f32_16x16x4_f32 a[76+0:79+0], v[vgprValuB_X0_I0+0+0+0], v[vgprValuA_X0_I0+2+0+0+1], a[76:79]
 // Ci += Ai*Br
v_mfma_f32_16x16x4_f32 a[4+0:7+0], v[vgprValuB_X0_I0+0+0+0+1], v85, a[4:7]
 // Cr += -Ai*Bi
v_mfma_f32_16x16x4_f32 a[76+0:79+0], v[vgprValuB_X0_I0+0+0+0+1], v[vgprValuA_X0_I0+2+0+0], a[76:79]
 // Ci += Ar*Bi
v_mfma_f32_16x16x4_f32 a[40+0:43+0], v[vgprValuB_X0_I0+2+0+0], v[vgprValuA_X0_I0+2+0+0], a[40:43]
 // Cr += Ar*Br
v_mfma_f32_16x16x4_f32 a[112+0:115+0], v[vgprValuB_X0_I0+2+0+0], v[vgprValuA_X0_I0+2+0+0+1], a[112:115]
 // Ci += Ai*Br
v_mfma_f32_16x16x4_f32 a[40+0:43+0], v[vgprValuB_X0_I0+2+0+0+1], v85, a[40:43]
 // Cr += -Ai*Bi
v_mfma_f32_16x16x4_f32 a[112+0:115+0], v[vgprValuB_X0_I0+2+0+0+1], v[vgprValuA_X0_I0+2+0+0], a[112:115]
 // Ci += Ar*Bi
v_add_f32 v85, -v[vgprValuA_X0_I0+4+0+0+1], 0      // Ai=-Ai
v_mfma_f32_16x16x4_f32 a[8+0:11+0], v[vgprValuB_X0_I0+0+0+0], v[vgprValuA_X0_I0+4+0+0], a[8:11]
 // Cr += Ar*Br
v_mfma_f32_16x16x4_f32 a[80+0:83+0], v[vgprValuB_X0_I0+0+0+0], v[vgprValuA_X0_I0+4+0+0+1], a[80:83]
 // Ci += Ai*Br
v_mfma_f32_16x16x4_f32 a[8+0:11+0], v[vgprValuB_X0_I0+0+0+0+1], v85, a[8:11]
 // Cr += -Ai*Bi
v_mfma_f32_16x16x4_f32 a[80+0:83+0], v[vgprValuB_X0_I0+0+0+0+1], v[vgprValuA_X0_I0+4+0+0], a[80:83]
 // Ci += Ar*Bi
v_mfma_f32_16x16x4_f32 a[44+0:47+0], v[vgprValuB_X0_I0+2+0+0], v[vgprValuA_X0_I0+4+0+0], a[44:47]
 // Cr += Ar*Br
v_mfma_f32_16x16x4_f32 a[116+0:119+0], v[vgprValuB_X0_I0+2+0+0], v[vgprValuA_X0_I0+4+0+0+1], a[116:119]
 // Ci += Ai*Br
v_mfma_f32_16x16x4_f32 a[44+0:47+0], v[vgprValuB_X0_I0+2+0+0+1], v85, a[44:47]
 // Cr += -Ai*Bi
v_mfma_f32_16x16x4_f32 a[116+0:119+0], v[vgprValuB_X0_I0+2+0+0+1], v[vgprValuA_X0_I0+4+0+0], a[116:119]
 // Ci += Ar*Bi
v_add_f32 v85, -v[vgprValuA_X0_I0+6+0+0+1], 0      // Ai=-Ai
v_mfma_f32_16x16x4_f32 a[12+0:15+0], v[vgprValuB_X0_I0+0+0+0], v[vgprValuA_X0_I0+6+0+0], a[12:15]
 // Cr += Ar*Br
v_mfma_f32_16x16x4_f32 a[84+0:87+0], v[vgprValuB_X0_I0+0+0+0], v[vgprValuA_X0_I0+6+0+0+1], a[84:87]
 // Ci += Ai*Br
v_mfma_f32_16x16x4_f32 a[12+0:15+0], v[vgprValuB_X0_I0+0+0+0+1], v85, a[12:15]
 // Cr += -Ai*Bi
v_mfma_f32_16x16x4_f32 a[84+0:87+0], v[vgprValuB_X0_I0+0+0+0+1], v[vgprValuA_X0_I0+6+0+0], a[84:87]
 // Ci += Ar*Bi
v_mfma_f32_16x16x4_f32 a[48+0:51+0], v[vgprValuB_X0_I0+2+0+0], v[vgprValuA_X0_I0+6+0+0], a[48:51]
 // Cr += Ar*Br
v_mfma_f32_16x16x4_f32 a[120+0:123+0], v[vgprValuB_X0_I0+2+0+0], v[vgprValuA_X0_I0+6+0+0+1], a[120:123]
 // Ci += Ai*Br
v_mfma_f32_16x16x4_f32 a[48+0:51+0], v[vgprValuB_X0_I0+2+0+0+1], v85, a[48:51]
 // Cr += -Ai*Bi
v_mfma_f32_16x16x4_f32 a[120+0:123+0], v[vgprValuB_X0_I0+2+0+0+1], v[vgprValuA_X0_I0+6+0+0], a[120:123]
 // Ci += Ar*Bi
v_add_f32 v85, -v[vgprValuA_X0_I0+8+0+0+1], 0      // Ai=-Ai
v_mfma_f32_16x16x4_f32 a[16+0:19+0], v[vgprValuB_X0_I0+0+0+0], v[vgprValuA_X0_I0+8+0+0], a[16:19]
 // Cr += Ar*Br
v_mfma_f32_16x16x4_f32 a[88+0:91+0], v[vgprValuB_X0_I0+0+0+0], v[vgprValuA_X0_I0+8+0+0+1], a[88:91]
 // Ci += Ai*Br
v_mfma_f32_16x16x4_f32 a[16+0:19+0], v[vgprValuB_X0_I0+0+0+0+1], v85, a[16:19]
 // Cr += -Ai*Bi
v_mfma_f32_16x16x4_f32 a[88+0:91+0], v[vgprValuB_X0_I0+0+0+0+1], v[vgprValuA_X0_I0+8+0+0], a[88:91]
 // Ci += Ar*Bi
v_mfma_f32_16x16x4_f32 a[52+0:55+0], v[vgprValuB_X0_I0+2+0+0], v[vgprValuA_X0_I0+8+0+0], a[52:55]
 // Cr += Ar*Br
v_mfma_f32_16x16x4_f32 a[124+0:127+0], v[vgprValuB_X0_I0+2+0+0], v[vgprValuA_X0_I0+8+0+0+1], a[124:127]
 // Ci += Ai*Br
v_mfma_f32_16x16x4_f32 a[52+0:55+0], v[vgprValuB_X0_I0+2+0+0+1], v85, a[52:55]
 // Cr += -Ai*Bi
v_mfma_f32_16x16x4_f32 a[124+0:127+0], v[vgprValuB_X0_I0+2+0+0+1], v[vgprValuA_X0_I0+8+0+0], a[124:127]
 // Ci += Ar*Bi
v_add_f32 v85, -v[vgprValuA_X0_I0+10+0+0+1], 0     // Ai=-Ai
v_mfma_f32_16x16x4_f32 a[20+0:23+0], v[vgprValuB_X0_I0+0+0+0], v[vgprValuA_X0_I0+10+0+0], a[20:23]
 // Cr += Ar*Br
v_mfma_f32_16x16x4_f32 a[92+0:95+0], v[vgprValuB_X0_I0+0+0+0], v[vgprValuA_X0_I0+10+0+0+1], a[92:95]
 // Ci += Ai*Br
v_mfma_f32_16x16x4_f32 a[20+0:23+0], v[vgprValuB_X0_I0+0+0+0+1], v85, a[20:23]
 // Cr += -Ai*Bi
v_mfma_f32_16x16x4_f32 a[92+0:95+0], v[vgprValuB_X0_I0+0+0+0+1], v[vgprValuA_X0_I0+10+0+0], a[92:95]
 // Ci += Ar*Bi
v_mfma_f32_16x16x4_f32 a[56+0:59+0], v[vgprValuB_X0_I0+2+0+0], v[vgprValuA_X0_I0+10+0+0], a[56:59]
 // Cr += Ar*Br
v_mfma_f32_16x16x4_f32 a[128+0:131+0], v[vgprValuB_X0_I0+2+0+0], v[vgprValuA_X0_I0+10+0+0+1], a[128:131]
 // Ci += Ai*Br
v_mfma_f32_16x16x4_f32 a[56+0:59+0], v[vgprValuB_X0_I0+2+0+0+1], v85, a[56:59]
 // Cr += -Ai*Bi
v_mfma_f32_16x16x4_f32 a[128+0:131+0], v[vgprValuB_X0_I0+2+0+0+1], v[vgprValuA_X0_I0+10+0+0], a[128:131]
 // Ci += Ar*Bi
v_add_f32 v85, -v[vgprValuA_X0_I0+12+0+0+1], 0     // Ai=-Ai
v_mfma_f32_16x16x4_f32 a[24+0:27+0], v[vgprValuB_X0_I0+0+0+0], v[vgprValuA_X0_I0+12+0+0], a[24:27]
 // Cr += Ar*Br
v_mfma_f32_16x16x4_f32 a[96+0:99+0], v[vgprValuB_X0_I0+0+0+0], v[vgprValuA_X0_I0+12+0+0+1], a[96:99]
 // Ci += Ai*Br
v_mfma_f32_16x16x4_f32 a[24+0:27+0], v[vgprValuB_X0_I0+0+0+0+1], v85, a[24:27]
 // Cr += -Ai*Bi
v_mfma_f32_16x16x4_f32 a[96+0:99+0], v[vgprValuB_X0_I0+0+0+0+1], v[vgprValuA_X0_I0+12+0+0], a[96:99]
 // Ci += Ar*Bi
v_mfma_f32_16x16x4_f32 a[60+0:63+0], v[vgprValuB_X0_I0+2+0+0], v[vgprValuA_X0_I0+12+0+0], a[60:63]
 // Cr += Ar*Br
v_mfma_f32_16x16x4_f32 a[132+0:135+0], v[vgprValuB_X0_I0+2+0+0], v[vgprValuA_X0_I0+12+0+0+1], a[132:135]
 // Ci += Ai*Br
v_mfma_f32_16x16x4_f32 a[60+0:63+0], v[vgprValuB_X0_I0+2+0+0+1], v85, a[60:63]
 // Cr += -Ai*Bi
v_mfma_f32_16x16x4_f32 a[132+0:135+0], v[vgprValuB_X0_I0+2+0+0+1], v[vgprValuA_X0_I0+12+0+0], a[132:135]
 // Ci += Ar*Bi
	;; [unrolled: 17-line block ×4, first 2 shown]


/* closeLoop loopL finalLoop=0 tailLoop=1 */
s_sub_i32 s[sgprLoopCounterL], s[sgprLoopCounterL], 0x4 // dec counterL (tailLoop)
s_add_u32 s[sgprOrigLoopCounter], s[sgprOrigLoopCounter], 0x4 // inc counterL
s_cmp_le_i32 s[sgprLoopCounterL], 0x0              // counterL<=0
s_cbranch_scc1 TailLoopEndL_7                      // exit LoopL


/* tail loop unroll iter 1 */


/* local read a */

_ds_load_b64 v[vgprValuA_X1_I0+0:vgprValuA_X1_I0+0+1], v[vgprLocalReadAddrA] offset:0 // L -> Reg lro=0 swapByteOffset=0 ti=16 vIdx=0 rIdx=0 oIdx=0 buffer=1 iui=0
_ds_load_b64 v[vgprValuA_X1_I0+2:vgprValuA_X1_I0+2+1], v[vgprLocalReadAddrA] offset:2176 // L -> Reg lro=0 swapByteOffset=0 ti=16 vIdx=1 rIdx=0 oIdx=0 buffer=1 iui=0
	;; [unrolled: 1-line block ×9, first 2 shown]


/* local read b */

_ds_load_b64 v[vgprValuB_X1_I0+0:vgprValuB_X1_I0+0+1], v[vgprLocalReadAddrB] offset:0 // L -> Reg lro=0 swapByteOffset=0 ti=64 vIdx=0 rIdx=0 oIdx=0 buffer=1 iui=0
_ds_load_b64 v[vgprValuB_X1_I0+2:vgprValuB_X1_I0+2+1], v[vgprLocalReadAddrB] offset:9216 // L -> Reg lro=0 swapByteOffset=0 ti=64 vIdx=1 rIdx=0 oIdx=0 buffer=1 iui=0


/* local read inc a */

s_mov_b32 s58, 0x20                                // inc
_v_add_co_u32 v[vgprLocalReadAddrA], vcc, s58, v[vgprLocalReadAddrA] // lrA += 32 (LSU*bpe)


/* local read inc b */

s_mov_b32 s58, 0x20                                // inc
_v_add_co_u32 v[vgprLocalReadAddrB], vcc, s58, v[vgprLocalReadAddrB] // lrB += 32 (LSU*bpe)

s_waitcnt lgkmcnt(0)                               // lgkmcnt=0 vmcnt=-14wait for local read


	;; [unrolled: 1-line block ×3, first 2 shown]
/* tail loop mfma iter 1: numReadsIterCoalescedA=1, numReadsIterCoalescedB=1 */
v_and_b32 v85, 63, v[vgprSerial]                   // v85 = v[vgprSerial] % 64
v_lshrrev_b32 v85, 4, v85                          // v85 = v85 / 16
                                                   // v85 = v85 * 1 (multiplier is 1, do nothing)
v_cmp_ge_i32 s[72:73], v85, s[sgprLoopCounterL]    // check K index >= Size L
v_cndmask_b32 v[vgprValuA_X1_I0+0+0+0+0], v[vgprValuA_X1_I0+0+0+0+0], 0x0, s[72:73] // set 0 if K_idx >= sizeL
v_cndmask_b32 v[vgprValuA_X1_I0+2+0+0+0], v[vgprValuA_X1_I0+2+0+0+0], 0x0, s[72:73] // set 0 if K_idx >= sizeL
	;; [unrolled: 1-line block ×9, first 2 shown]
v_cndmask_b32 v[vgprValuB_X1_I0+0+0+0+0], v[vgprValuB_X1_I0+0+0+0+0], 0x0, s[72:73] // set 0 if K_idx >= sizeL
v_cndmask_b32 v[vgprValuB_X1_I0+2+0+0+0], v[vgprValuB_X1_I0+2+0+0+0], 0x0, s[72:73] // set 0 if K_idx >= sizeL
v_cndmask_b32 v[vgprValuA_X1_I0+0+0+0+1], v[vgprValuA_X1_I0+0+0+0+1], 0x0, s[72:73] // set 0 if K_idx >= sizeL
v_cndmask_b32 v[vgprValuA_X1_I0+2+0+0+1], v[vgprValuA_X1_I0+2+0+0+1], 0x0, s[72:73] // set 0 if K_idx >= sizeL
v_cndmask_b32 v[vgprValuA_X1_I0+4+0+0+1], v[vgprValuA_X1_I0+4+0+0+1], 0x0, s[72:73] // set 0 if K_idx >= sizeL
v_cndmask_b32 v[vgprValuA_X1_I0+6+0+0+1], v[vgprValuA_X1_I0+6+0+0+1], 0x0, s[72:73] // set 0 if K_idx >= sizeL
v_cndmask_b32 v[vgprValuA_X1_I0+8+0+0+1], v[vgprValuA_X1_I0+8+0+0+1], 0x0, s[72:73] // set 0 if K_idx >= sizeL
v_cndmask_b32 v[vgprValuA_X1_I0+10+0+0+1], v[vgprValuA_X1_I0+10+0+0+1], 0x0, s[72:73] // set 0 if K_idx >= sizeL
v_cndmask_b32 v[vgprValuA_X1_I0+12+0+0+1], v[vgprValuA_X1_I0+12+0+0+1], 0x0, s[72:73] // set 0 if K_idx >= sizeL
v_cndmask_b32 v[vgprValuA_X1_I0+14+0+0+1], v[vgprValuA_X1_I0+14+0+0+1], 0x0, s[72:73] // set 0 if K_idx >= sizeL
v_cndmask_b32 v[vgprValuA_X1_I0+16+0+0+1], v[vgprValuA_X1_I0+16+0+0+1], 0x0, s[72:73] // set 0 if K_idx >= sizeL
v_cndmask_b32 v[vgprValuB_X1_I0+0+0+0+1], v[vgprValuB_X1_I0+0+0+0+1], 0x0, s[72:73] // set 0 if K_idx >= sizeL
v_cndmask_b32 v[vgprValuB_X1_I0+2+0+0+1], v[vgprValuB_X1_I0+2+0+0+1], 0x0, s[72:73] // set 0 if K_idx >= sizeL
s_nop 1
v_add_f32 v85, -v[vgprValuA_X1_I0+0+0+0+1], 0      // Ai=-Ai
v_mfma_f32_16x16x4_f32 a[0+0:3+0], v[vgprValuB_X1_I0+0+0+0], v[vgprValuA_X1_I0+0+0+0], a[0:3]
 // Cr += Ar*Br
v_mfma_f32_16x16x4_f32 a[72+0:75+0], v[vgprValuB_X1_I0+0+0+0], v[vgprValuA_X1_I0+0+0+0+1], a[72:75]
 // Ci += Ai*Br
v_mfma_f32_16x16x4_f32 a[0+0:3+0], v[vgprValuB_X1_I0+0+0+0+1], v85, a[0:3]
 // Cr += -Ai*Bi
v_mfma_f32_16x16x4_f32 a[72+0:75+0], v[vgprValuB_X1_I0+0+0+0+1], v[vgprValuA_X1_I0+0+0+0], a[72:75]
 // Ci += Ar*Bi
v_mfma_f32_16x16x4_f32 a[36+0:39+0], v[vgprValuB_X1_I0+2+0+0], v[vgprValuA_X1_I0+0+0+0], a[36:39]
 // Cr += Ar*Br
v_mfma_f32_16x16x4_f32 a[108+0:111+0], v[vgprValuB_X1_I0+2+0+0], v[vgprValuA_X1_I0+0+0+0+1], a[108:111]
 // Ci += Ai*Br
v_mfma_f32_16x16x4_f32 a[36+0:39+0], v[vgprValuB_X1_I0+2+0+0+1], v85, a[36:39]
 // Cr += -Ai*Bi
v_mfma_f32_16x16x4_f32 a[108+0:111+0], v[vgprValuB_X1_I0+2+0+0+1], v[vgprValuA_X1_I0+0+0+0], a[108:111]
 // Ci += Ar*Bi
v_add_f32 v85, -v[vgprValuA_X1_I0+2+0+0+1], 0      // Ai=-Ai
v_mfma_f32_16x16x4_f32 a[4+0:7+0], v[vgprValuB_X1_I0+0+0+0], v[vgprValuA_X1_I0+2+0+0], a[4:7]
 // Cr += Ar*Br
v_mfma_f32_16x16x4_f32 a[76+0:79+0], v[vgprValuB_X1_I0+0+0+0], v[vgprValuA_X1_I0+2+0+0+1], a[76:79]
 // Ci += Ai*Br
v_mfma_f32_16x16x4_f32 a[4+0:7+0], v[vgprValuB_X1_I0+0+0+0+1], v85, a[4:7]
 // Cr += -Ai*Bi
v_mfma_f32_16x16x4_f32 a[76+0:79+0], v[vgprValuB_X1_I0+0+0+0+1], v[vgprValuA_X1_I0+2+0+0], a[76:79]
 // Ci += Ar*Bi
v_mfma_f32_16x16x4_f32 a[40+0:43+0], v[vgprValuB_X1_I0+2+0+0], v[vgprValuA_X1_I0+2+0+0], a[40:43]
 // Cr += Ar*Br
v_mfma_f32_16x16x4_f32 a[112+0:115+0], v[vgprValuB_X1_I0+2+0+0], v[vgprValuA_X1_I0+2+0+0+1], a[112:115]
 // Ci += Ai*Br
v_mfma_f32_16x16x4_f32 a[40+0:43+0], v[vgprValuB_X1_I0+2+0+0+1], v85, a[40:43]
 // Cr += -Ai*Bi
v_mfma_f32_16x16x4_f32 a[112+0:115+0], v[vgprValuB_X1_I0+2+0+0+1], v[vgprValuA_X1_I0+2+0+0], a[112:115]
 // Ci += Ar*Bi
	;; [unrolled: 17-line block ×5, first 2 shown]
v_add_f32 v85, -v[vgprValuA_X1_I0+10+0+0+1], 0     // Ai=-Ai
v_mfma_f32_16x16x4_f32 a[20+0:23+0], v[vgprValuB_X1_I0+0+0+0], v[vgprValuA_X1_I0+10+0+0], a[20:23]
 // Cr += Ar*Br
v_mfma_f32_16x16x4_f32 a[92+0:95+0], v[vgprValuB_X1_I0+0+0+0], v[vgprValuA_X1_I0+10+0+0+1], a[92:95]
 // Ci += Ai*Br
v_mfma_f32_16x16x4_f32 a[20+0:23+0], v[vgprValuB_X1_I0+0+0+0+1], v85, a[20:23]
 // Cr += -Ai*Bi
v_mfma_f32_16x16x4_f32 a[92+0:95+0], v[vgprValuB_X1_I0+0+0+0+1], v[vgprValuA_X1_I0+10+0+0], a[92:95]
 // Ci += Ar*Bi
v_mfma_f32_16x16x4_f32 a[56+0:59+0], v[vgprValuB_X1_I0+2+0+0], v[vgprValuA_X1_I0+10+0+0], a[56:59]
 // Cr += Ar*Br
v_mfma_f32_16x16x4_f32 a[128+0:131+0], v[vgprValuB_X1_I0+2+0+0], v[vgprValuA_X1_I0+10+0+0+1], a[128:131]
 // Ci += Ai*Br
v_mfma_f32_16x16x4_f32 a[56+0:59+0], v[vgprValuB_X1_I0+2+0+0+1], v85, a[56:59]
 // Cr += -Ai*Bi
v_mfma_f32_16x16x4_f32 a[128+0:131+0], v[vgprValuB_X1_I0+2+0+0+1], v[vgprValuA_X1_I0+10+0+0], a[128:131]
 // Ci += Ar*Bi
v_add_f32 v85, -v[vgprValuA_X1_I0+12+0+0+1], 0     // Ai=-Ai
v_mfma_f32_16x16x4_f32 a[24+0:27+0], v[vgprValuB_X1_I0+0+0+0], v[vgprValuA_X1_I0+12+0+0], a[24:27]
 // Cr += Ar*Br
v_mfma_f32_16x16x4_f32 a[96+0:99+0], v[vgprValuB_X1_I0+0+0+0], v[vgprValuA_X1_I0+12+0+0+1], a[96:99]
 // Ci += Ai*Br
v_mfma_f32_16x16x4_f32 a[24+0:27+0], v[vgprValuB_X1_I0+0+0+0+1], v85, a[24:27]
 // Cr += -Ai*Bi
v_mfma_f32_16x16x4_f32 a[96+0:99+0], v[vgprValuB_X1_I0+0+0+0+1], v[vgprValuA_X1_I0+12+0+0], a[96:99]
 // Ci += Ar*Bi
v_mfma_f32_16x16x4_f32 a[60+0:63+0], v[vgprValuB_X1_I0+2+0+0], v[vgprValuA_X1_I0+12+0+0], a[60:63]
 // Cr += Ar*Br
v_mfma_f32_16x16x4_f32 a[132+0:135+0], v[vgprValuB_X1_I0+2+0+0], v[vgprValuA_X1_I0+12+0+0+1], a[132:135]
 // Ci += Ai*Br
v_mfma_f32_16x16x4_f32 a[60+0:63+0], v[vgprValuB_X1_I0+2+0+0+1], v85, a[60:63]
 // Cr += -Ai*Bi
v_mfma_f32_16x16x4_f32 a[132+0:135+0], v[vgprValuB_X1_I0+2+0+0+1], v[vgprValuA_X1_I0+12+0+0], a[132:135]
 // Ci += Ar*Bi
	;; [unrolled: 17-line block ×4, first 2 shown]


/* closeLoop loopL finalLoop=0 tailLoop=1 */
s_sub_i32 s[sgprLoopCounterL], s[sgprLoopCounterL], 0x4 // dec counterL (tailLoop)
s_add_u32 s[sgprOrigLoopCounter], s[sgprOrigLoopCounter], 0x4 // inc counterL
s_cmp_le_i32 s[sgprLoopCounterL], 0x0              // counterL<=0
s_cbranch_scc1 TailLoopEndL_7                      // exit LoopL


/* tail loop unroll iter 2 */


/* local read a */

_ds_load_b64 v[vgprValuA_X0_I0+0:vgprValuA_X0_I0+0+1], v[vgprLocalReadAddrA] offset:0 // L -> Reg lro=0 swapByteOffset=0 ti=16 vIdx=0 rIdx=0 oIdx=0 buffer=0 iui=0
_ds_load_b64 v[vgprValuA_X0_I0+2:vgprValuA_X0_I0+2+1], v[vgprLocalReadAddrA] offset:2176 // L -> Reg lro=0 swapByteOffset=0 ti=16 vIdx=1 rIdx=0 oIdx=0 buffer=0 iui=0
	;; [unrolled: 1-line block ×9, first 2 shown]


/* local read b */

_ds_load_b64 v[vgprValuB_X0_I0+0:vgprValuB_X0_I0+0+1], v[vgprLocalReadAddrB] offset:0 // L -> Reg lro=0 swapByteOffset=0 ti=64 vIdx=0 rIdx=0 oIdx=0 buffer=0 iui=0
_ds_load_b64 v[vgprValuB_X0_I0+2:vgprValuB_X0_I0+2+1], v[vgprLocalReadAddrB] offset:9216 // L -> Reg lro=0 swapByteOffset=0 ti=64 vIdx=1 rIdx=0 oIdx=0 buffer=0 iui=0


/* local read inc a */

s_mov_b32 s58, 0x20                                // inc
_v_add_co_u32 v[vgprLocalReadAddrA], vcc, s58, v[vgprLocalReadAddrA] // lrA += 32 (LSU*bpe)


/* local read inc b */

s_mov_b32 s58, 0x20                                // inc
_v_add_co_u32 v[vgprLocalReadAddrB], vcc, s58, v[vgprLocalReadAddrB] // lrB += 32 (LSU*bpe)

s_waitcnt lgkmcnt(0)                               // lgkmcnt=0 vmcnt=-14wait for local read


	;; [unrolled: 1-line block ×3, first 2 shown]
/* tail loop mfma iter 2: numReadsIterCoalescedA=1, numReadsIterCoalescedB=1 */
v_and_b32 v85, 63, v[vgprSerial]                   // v85 = v[vgprSerial] % 64
v_lshrrev_b32 v85, 4, v85                          // v85 = v85 / 16
                                                   // v85 = v85 * 1 (multiplier is 1, do nothing)
v_cmp_ge_i32 s[72:73], v85, s[sgprLoopCounterL]    // check K index >= Size L
v_cndmask_b32 v[vgprValuA_X0_I0+0+0+0+0], v[vgprValuA_X0_I0+0+0+0+0], 0x0, s[72:73] // set 0 if K_idx >= sizeL
v_cndmask_b32 v[vgprValuA_X0_I0+2+0+0+0], v[vgprValuA_X0_I0+2+0+0+0], 0x0, s[72:73] // set 0 if K_idx >= sizeL
	;; [unrolled: 1-line block ×9, first 2 shown]
v_cndmask_b32 v[vgprValuB_X0_I0+0+0+0+0], v[vgprValuB_X0_I0+0+0+0+0], 0x0, s[72:73] // set 0 if K_idx >= sizeL
v_cndmask_b32 v[vgprValuB_X0_I0+2+0+0+0], v[vgprValuB_X0_I0+2+0+0+0], 0x0, s[72:73] // set 0 if K_idx >= sizeL
v_cndmask_b32 v[vgprValuA_X0_I0+0+0+0+1], v[vgprValuA_X0_I0+0+0+0+1], 0x0, s[72:73] // set 0 if K_idx >= sizeL
v_cndmask_b32 v[vgprValuA_X0_I0+2+0+0+1], v[vgprValuA_X0_I0+2+0+0+1], 0x0, s[72:73] // set 0 if K_idx >= sizeL
	;; [unrolled: 1-line block ×9, first 2 shown]
v_cndmask_b32 v[vgprValuB_X0_I0+0+0+0+1], v[vgprValuB_X0_I0+0+0+0+1], 0x0, s[72:73] // set 0 if K_idx >= sizeL
v_cndmask_b32 v[vgprValuB_X0_I0+2+0+0+1], v[vgprValuB_X0_I0+2+0+0+1], 0x0, s[72:73] // set 0 if K_idx >= sizeL
s_nop 1
v_add_f32 v85, -v[vgprValuA_X0_I0+0+0+0+1], 0      // Ai=-Ai
v_mfma_f32_16x16x4_f32 a[0+0:3+0], v[vgprValuB_X0_I0+0+0+0], v[vgprValuA_X0_I0+0+0+0], a[0:3]
 // Cr += Ar*Br
v_mfma_f32_16x16x4_f32 a[72+0:75+0], v[vgprValuB_X0_I0+0+0+0], v[vgprValuA_X0_I0+0+0+0+1], a[72:75]
 // Ci += Ai*Br
v_mfma_f32_16x16x4_f32 a[0+0:3+0], v[vgprValuB_X0_I0+0+0+0+1], v85, a[0:3]
 // Cr += -Ai*Bi
v_mfma_f32_16x16x4_f32 a[72+0:75+0], v[vgprValuB_X0_I0+0+0+0+1], v[vgprValuA_X0_I0+0+0+0], a[72:75]
 // Ci += Ar*Bi
v_mfma_f32_16x16x4_f32 a[36+0:39+0], v[vgprValuB_X0_I0+2+0+0], v[vgprValuA_X0_I0+0+0+0], a[36:39]
 // Cr += Ar*Br
v_mfma_f32_16x16x4_f32 a[108+0:111+0], v[vgprValuB_X0_I0+2+0+0], v[vgprValuA_X0_I0+0+0+0+1], a[108:111]
 // Ci += Ai*Br
v_mfma_f32_16x16x4_f32 a[36+0:39+0], v[vgprValuB_X0_I0+2+0+0+1], v85, a[36:39]
 // Cr += -Ai*Bi
v_mfma_f32_16x16x4_f32 a[108+0:111+0], v[vgprValuB_X0_I0+2+0+0+1], v[vgprValuA_X0_I0+0+0+0], a[108:111]
 // Ci += Ar*Bi
v_add_f32 v85, -v[vgprValuA_X0_I0+2+0+0+1], 0      // Ai=-Ai
v_mfma_f32_16x16x4_f32 a[4+0:7+0], v[vgprValuB_X0_I0+0+0+0], v[vgprValuA_X0_I0+2+0+0], a[4:7]
 // Cr += Ar*Br
v_mfma_f32_16x16x4_f32 a[76+0:79+0], v[vgprValuB_X0_I0+0+0+0], v[vgprValuA_X0_I0+2+0+0+1], a[76:79]
 // Ci += Ai*Br
v_mfma_f32_16x16x4_f32 a[4+0:7+0], v[vgprValuB_X0_I0+0+0+0+1], v85, a[4:7]
 // Cr += -Ai*Bi
v_mfma_f32_16x16x4_f32 a[76+0:79+0], v[vgprValuB_X0_I0+0+0+0+1], v[vgprValuA_X0_I0+2+0+0], a[76:79]
 // Ci += Ar*Bi
v_mfma_f32_16x16x4_f32 a[40+0:43+0], v[vgprValuB_X0_I0+2+0+0], v[vgprValuA_X0_I0+2+0+0], a[40:43]
 // Cr += Ar*Br
v_mfma_f32_16x16x4_f32 a[112+0:115+0], v[vgprValuB_X0_I0+2+0+0], v[vgprValuA_X0_I0+2+0+0+1], a[112:115]
 // Ci += Ai*Br
v_mfma_f32_16x16x4_f32 a[40+0:43+0], v[vgprValuB_X0_I0+2+0+0+1], v85, a[40:43]
 // Cr += -Ai*Bi
v_mfma_f32_16x16x4_f32 a[112+0:115+0], v[vgprValuB_X0_I0+2+0+0+1], v[vgprValuA_X0_I0+2+0+0], a[112:115]
 // Ci += Ar*Bi
v_add_f32 v85, -v[vgprValuA_X0_I0+4+0+0+1], 0      // Ai=-Ai
v_mfma_f32_16x16x4_f32 a[8+0:11+0], v[vgprValuB_X0_I0+0+0+0], v[vgprValuA_X0_I0+4+0+0], a[8:11]
 // Cr += Ar*Br
v_mfma_f32_16x16x4_f32 a[80+0:83+0], v[vgprValuB_X0_I0+0+0+0], v[vgprValuA_X0_I0+4+0+0+1], a[80:83]
 // Ci += Ai*Br
v_mfma_f32_16x16x4_f32 a[8+0:11+0], v[vgprValuB_X0_I0+0+0+0+1], v85, a[8:11]
 // Cr += -Ai*Bi
v_mfma_f32_16x16x4_f32 a[80+0:83+0], v[vgprValuB_X0_I0+0+0+0+1], v[vgprValuA_X0_I0+4+0+0], a[80:83]
 // Ci += Ar*Bi
v_mfma_f32_16x16x4_f32 a[44+0:47+0], v[vgprValuB_X0_I0+2+0+0], v[vgprValuA_X0_I0+4+0+0], a[44:47]
 // Cr += Ar*Br
v_mfma_f32_16x16x4_f32 a[116+0:119+0], v[vgprValuB_X0_I0+2+0+0], v[vgprValuA_X0_I0+4+0+0+1], a[116:119]
 // Ci += Ai*Br
v_mfma_f32_16x16x4_f32 a[44+0:47+0], v[vgprValuB_X0_I0+2+0+0+1], v85, a[44:47]
 // Cr += -Ai*Bi
v_mfma_f32_16x16x4_f32 a[116+0:119+0], v[vgprValuB_X0_I0+2+0+0+1], v[vgprValuA_X0_I0+4+0+0], a[116:119]
 // Ci += Ar*Bi
v_add_f32 v85, -v[vgprValuA_X0_I0+6+0+0+1], 0      // Ai=-Ai
v_mfma_f32_16x16x4_f32 a[12+0:15+0], v[vgprValuB_X0_I0+0+0+0], v[vgprValuA_X0_I0+6+0+0], a[12:15]
 // Cr += Ar*Br
v_mfma_f32_16x16x4_f32 a[84+0:87+0], v[vgprValuB_X0_I0+0+0+0], v[vgprValuA_X0_I0+6+0+0+1], a[84:87]
 // Ci += Ai*Br
v_mfma_f32_16x16x4_f32 a[12+0:15+0], v[vgprValuB_X0_I0+0+0+0+1], v85, a[12:15]
 // Cr += -Ai*Bi
v_mfma_f32_16x16x4_f32 a[84+0:87+0], v[vgprValuB_X0_I0+0+0+0+1], v[vgprValuA_X0_I0+6+0+0], a[84:87]
 // Ci += Ar*Bi
v_mfma_f32_16x16x4_f32 a[48+0:51+0], v[vgprValuB_X0_I0+2+0+0], v[vgprValuA_X0_I0+6+0+0], a[48:51]
 // Cr += Ar*Br
v_mfma_f32_16x16x4_f32 a[120+0:123+0], v[vgprValuB_X0_I0+2+0+0], v[vgprValuA_X0_I0+6+0+0+1], a[120:123]
 // Ci += Ai*Br
v_mfma_f32_16x16x4_f32 a[48+0:51+0], v[vgprValuB_X0_I0+2+0+0+1], v85, a[48:51]
 // Cr += -Ai*Bi
v_mfma_f32_16x16x4_f32 a[120+0:123+0], v[vgprValuB_X0_I0+2+0+0+1], v[vgprValuA_X0_I0+6+0+0], a[120:123]
 // Ci += Ar*Bi
v_add_f32 v85, -v[vgprValuA_X0_I0+8+0+0+1], 0      // Ai=-Ai
v_mfma_f32_16x16x4_f32 a[16+0:19+0], v[vgprValuB_X0_I0+0+0+0], v[vgprValuA_X0_I0+8+0+0], a[16:19]
 // Cr += Ar*Br
v_mfma_f32_16x16x4_f32 a[88+0:91+0], v[vgprValuB_X0_I0+0+0+0], v[vgprValuA_X0_I0+8+0+0+1], a[88:91]
 // Ci += Ai*Br
v_mfma_f32_16x16x4_f32 a[16+0:19+0], v[vgprValuB_X0_I0+0+0+0+1], v85, a[16:19]
 // Cr += -Ai*Bi
v_mfma_f32_16x16x4_f32 a[88+0:91+0], v[vgprValuB_X0_I0+0+0+0+1], v[vgprValuA_X0_I0+8+0+0], a[88:91]
 // Ci += Ar*Bi
v_mfma_f32_16x16x4_f32 a[52+0:55+0], v[vgprValuB_X0_I0+2+0+0], v[vgprValuA_X0_I0+8+0+0], a[52:55]
 // Cr += Ar*Br
v_mfma_f32_16x16x4_f32 a[124+0:127+0], v[vgprValuB_X0_I0+2+0+0], v[vgprValuA_X0_I0+8+0+0+1], a[124:127]
 // Ci += Ai*Br
v_mfma_f32_16x16x4_f32 a[52+0:55+0], v[vgprValuB_X0_I0+2+0+0+1], v85, a[52:55]
 // Cr += -Ai*Bi
v_mfma_f32_16x16x4_f32 a[124+0:127+0], v[vgprValuB_X0_I0+2+0+0+1], v[vgprValuA_X0_I0+8+0+0], a[124:127]
 // Ci += Ar*Bi
v_add_f32 v85, -v[vgprValuA_X0_I0+10+0+0+1], 0     // Ai=-Ai
v_mfma_f32_16x16x4_f32 a[20+0:23+0], v[vgprValuB_X0_I0+0+0+0], v[vgprValuA_X0_I0+10+0+0], a[20:23]
 // Cr += Ar*Br
v_mfma_f32_16x16x4_f32 a[92+0:95+0], v[vgprValuB_X0_I0+0+0+0], v[vgprValuA_X0_I0+10+0+0+1], a[92:95]
 // Ci += Ai*Br
v_mfma_f32_16x16x4_f32 a[20+0:23+0], v[vgprValuB_X0_I0+0+0+0+1], v85, a[20:23]
 // Cr += -Ai*Bi
v_mfma_f32_16x16x4_f32 a[92+0:95+0], v[vgprValuB_X0_I0+0+0+0+1], v[vgprValuA_X0_I0+10+0+0], a[92:95]
 // Ci += Ar*Bi
v_mfma_f32_16x16x4_f32 a[56+0:59+0], v[vgprValuB_X0_I0+2+0+0], v[vgprValuA_X0_I0+10+0+0], a[56:59]
 // Cr += Ar*Br
v_mfma_f32_16x16x4_f32 a[128+0:131+0], v[vgprValuB_X0_I0+2+0+0], v[vgprValuA_X0_I0+10+0+0+1], a[128:131]
 // Ci += Ai*Br
v_mfma_f32_16x16x4_f32 a[56+0:59+0], v[vgprValuB_X0_I0+2+0+0+1], v85, a[56:59]
 // Cr += -Ai*Bi
v_mfma_f32_16x16x4_f32 a[128+0:131+0], v[vgprValuB_X0_I0+2+0+0+1], v[vgprValuA_X0_I0+10+0+0], a[128:131]
 // Ci += Ar*Bi
v_add_f32 v85, -v[vgprValuA_X0_I0+12+0+0+1], 0     // Ai=-Ai
v_mfma_f32_16x16x4_f32 a[24+0:27+0], v[vgprValuB_X0_I0+0+0+0], v[vgprValuA_X0_I0+12+0+0], a[24:27]
 // Cr += Ar*Br
v_mfma_f32_16x16x4_f32 a[96+0:99+0], v[vgprValuB_X0_I0+0+0+0], v[vgprValuA_X0_I0+12+0+0+1], a[96:99]
 // Ci += Ai*Br
v_mfma_f32_16x16x4_f32 a[24+0:27+0], v[vgprValuB_X0_I0+0+0+0+1], v85, a[24:27]
 // Cr += -Ai*Bi
v_mfma_f32_16x16x4_f32 a[96+0:99+0], v[vgprValuB_X0_I0+0+0+0+1], v[vgprValuA_X0_I0+12+0+0], a[96:99]
 // Ci += Ar*Bi
v_mfma_f32_16x16x4_f32 a[60+0:63+0], v[vgprValuB_X0_I0+2+0+0], v[vgprValuA_X0_I0+12+0+0], a[60:63]
 // Cr += Ar*Br
v_mfma_f32_16x16x4_f32 a[132+0:135+0], v[vgprValuB_X0_I0+2+0+0], v[vgprValuA_X0_I0+12+0+0+1], a[132:135]
 // Ci += Ai*Br
v_mfma_f32_16x16x4_f32 a[60+0:63+0], v[vgprValuB_X0_I0+2+0+0+1], v85, a[60:63]
 // Cr += -Ai*Bi
v_mfma_f32_16x16x4_f32 a[132+0:135+0], v[vgprValuB_X0_I0+2+0+0+1], v[vgprValuA_X0_I0+12+0+0], a[132:135]
 // Ci += Ar*Bi
	;; [unrolled: 17-line block ×4, first 2 shown]


/* closeLoop loopL finalLoop=0 tailLoop=1 */
s_sub_i32 s[sgprLoopCounterL], s[sgprLoopCounterL], 0x4 // dec counterL (tailLoop)
s_add_u32 s[sgprOrigLoopCounter], s[sgprOrigLoopCounter], 0x4 // inc counterL
s_cmp_le_i32 s[sgprLoopCounterL], 0x0              // counterL<=0
s_cbranch_scc1 TailLoopEndL_7                      // exit LoopL


/* tail loop unroll iter 3 */


/* local read a */

_ds_load_b64 v[vgprValuA_X1_I0+0:vgprValuA_X1_I0+0+1], v[vgprLocalReadAddrA] offset:0 // L -> Reg lro=0 swapByteOffset=0 ti=16 vIdx=0 rIdx=0 oIdx=0 buffer=1 iui=0
_ds_load_b64 v[vgprValuA_X1_I0+2:vgprValuA_X1_I0+2+1], v[vgprLocalReadAddrA] offset:2176 // L -> Reg lro=0 swapByteOffset=0 ti=16 vIdx=1 rIdx=0 oIdx=0 buffer=1 iui=0
	;; [unrolled: 1-line block ×9, first 2 shown]


/* local read b */

_ds_load_b64 v[vgprValuB_X1_I0+0:vgprValuB_X1_I0+0+1], v[vgprLocalReadAddrB] offset:0 // L -> Reg lro=0 swapByteOffset=0 ti=64 vIdx=0 rIdx=0 oIdx=0 buffer=1 iui=0
_ds_load_b64 v[vgprValuB_X1_I0+2:vgprValuB_X1_I0+2+1], v[vgprLocalReadAddrB] offset:9216 // L -> Reg lro=0 swapByteOffset=0 ti=64 vIdx=1 rIdx=0 oIdx=0 buffer=1 iui=0


/* local read inc a */

s_mov_b32 s58, 0x28                                // inc
_v_add_co_u32 v[vgprLocalReadAddrA], vcc, s58, v[vgprLocalReadAddrA] // lrA += 40 (LSU*bpe)


/* local read inc b */

s_mov_b32 s58, 0x30                                // inc
_v_add_co_u32 v[vgprLocalReadAddrB], vcc, s58, v[vgprLocalReadAddrB] // lrB += 48 (LSU*bpe)

s_waitcnt lgkmcnt(0)                               // lgkmcnt=0 vmcnt=-14wait for local read


	;; [unrolled: 1-line block ×3, first 2 shown]
/* tail loop mfma iter 3: numReadsIterCoalescedA=1, numReadsIterCoalescedB=1 */
v_and_b32 v85, 63, v[vgprSerial]                   // v85 = v[vgprSerial] % 64
v_lshrrev_b32 v85, 4, v85                          // v85 = v85 / 16
                                                   // v85 = v85 * 1 (multiplier is 1, do nothing)
v_cmp_ge_i32 s[72:73], v85, s[sgprLoopCounterL]    // check K index >= Size L
v_cndmask_b32 v[vgprValuA_X1_I0+0+0+0+0], v[vgprValuA_X1_I0+0+0+0+0], 0x0, s[72:73] // set 0 if K_idx >= sizeL
v_cndmask_b32 v[vgprValuA_X1_I0+2+0+0+0], v[vgprValuA_X1_I0+2+0+0+0], 0x0, s[72:73] // set 0 if K_idx >= sizeL
	;; [unrolled: 1-line block ×9, first 2 shown]
v_cndmask_b32 v[vgprValuB_X1_I0+0+0+0+0], v[vgprValuB_X1_I0+0+0+0+0], 0x0, s[72:73] // set 0 if K_idx >= sizeL
v_cndmask_b32 v[vgprValuB_X1_I0+2+0+0+0], v[vgprValuB_X1_I0+2+0+0+0], 0x0, s[72:73] // set 0 if K_idx >= sizeL
v_cndmask_b32 v[vgprValuA_X1_I0+0+0+0+1], v[vgprValuA_X1_I0+0+0+0+1], 0x0, s[72:73] // set 0 if K_idx >= sizeL
v_cndmask_b32 v[vgprValuA_X1_I0+2+0+0+1], v[vgprValuA_X1_I0+2+0+0+1], 0x0, s[72:73] // set 0 if K_idx >= sizeL
	;; [unrolled: 1-line block ×9, first 2 shown]
v_cndmask_b32 v[vgprValuB_X1_I0+0+0+0+1], v[vgprValuB_X1_I0+0+0+0+1], 0x0, s[72:73] // set 0 if K_idx >= sizeL
v_cndmask_b32 v[vgprValuB_X1_I0+2+0+0+1], v[vgprValuB_X1_I0+2+0+0+1], 0x0, s[72:73] // set 0 if K_idx >= sizeL
s_nop 1
v_add_f32 v85, -v[vgprValuA_X1_I0+0+0+0+1], 0      // Ai=-Ai
v_mfma_f32_16x16x4_f32 a[0+0:3+0], v[vgprValuB_X1_I0+0+0+0], v[vgprValuA_X1_I0+0+0+0], a[0:3]
 // Cr += Ar*Br
v_mfma_f32_16x16x4_f32 a[72+0:75+0], v[vgprValuB_X1_I0+0+0+0], v[vgprValuA_X1_I0+0+0+0+1], a[72:75]
 // Ci += Ai*Br
v_mfma_f32_16x16x4_f32 a[0+0:3+0], v[vgprValuB_X1_I0+0+0+0+1], v85, a[0:3]
 // Cr += -Ai*Bi
v_mfma_f32_16x16x4_f32 a[72+0:75+0], v[vgprValuB_X1_I0+0+0+0+1], v[vgprValuA_X1_I0+0+0+0], a[72:75]
 // Ci += Ar*Bi
v_mfma_f32_16x16x4_f32 a[36+0:39+0], v[vgprValuB_X1_I0+2+0+0], v[vgprValuA_X1_I0+0+0+0], a[36:39]
 // Cr += Ar*Br
v_mfma_f32_16x16x4_f32 a[108+0:111+0], v[vgprValuB_X1_I0+2+0+0], v[vgprValuA_X1_I0+0+0+0+1], a[108:111]
 // Ci += Ai*Br
v_mfma_f32_16x16x4_f32 a[36+0:39+0], v[vgprValuB_X1_I0+2+0+0+1], v85, a[36:39]
 // Cr += -Ai*Bi
v_mfma_f32_16x16x4_f32 a[108+0:111+0], v[vgprValuB_X1_I0+2+0+0+1], v[vgprValuA_X1_I0+0+0+0], a[108:111]
 // Ci += Ar*Bi
v_add_f32 v85, -v[vgprValuA_X1_I0+2+0+0+1], 0      // Ai=-Ai
v_mfma_f32_16x16x4_f32 a[4+0:7+0], v[vgprValuB_X1_I0+0+0+0], v[vgprValuA_X1_I0+2+0+0], a[4:7]
 // Cr += Ar*Br
v_mfma_f32_16x16x4_f32 a[76+0:79+0], v[vgprValuB_X1_I0+0+0+0], v[vgprValuA_X1_I0+2+0+0+1], a[76:79]
 // Ci += Ai*Br
v_mfma_f32_16x16x4_f32 a[4+0:7+0], v[vgprValuB_X1_I0+0+0+0+1], v85, a[4:7]
 // Cr += -Ai*Bi
v_mfma_f32_16x16x4_f32 a[76+0:79+0], v[vgprValuB_X1_I0+0+0+0+1], v[vgprValuA_X1_I0+2+0+0], a[76:79]
 // Ci += Ar*Bi
v_mfma_f32_16x16x4_f32 a[40+0:43+0], v[vgprValuB_X1_I0+2+0+0], v[vgprValuA_X1_I0+2+0+0], a[40:43]
 // Cr += Ar*Br
v_mfma_f32_16x16x4_f32 a[112+0:115+0], v[vgprValuB_X1_I0+2+0+0], v[vgprValuA_X1_I0+2+0+0+1], a[112:115]
 // Ci += Ai*Br
v_mfma_f32_16x16x4_f32 a[40+0:43+0], v[vgprValuB_X1_I0+2+0+0+1], v85, a[40:43]
 // Cr += -Ai*Bi
v_mfma_f32_16x16x4_f32 a[112+0:115+0], v[vgprValuB_X1_I0+2+0+0+1], v[vgprValuA_X1_I0+2+0+0], a[112:115]
 // Ci += Ar*Bi
	;; [unrolled: 17-line block ×5, first 2 shown]
v_add_f32 v85, -v[vgprValuA_X1_I0+10+0+0+1], 0     // Ai=-Ai
v_mfma_f32_16x16x4_f32 a[20+0:23+0], v[vgprValuB_X1_I0+0+0+0], v[vgprValuA_X1_I0+10+0+0], a[20:23]
 // Cr += Ar*Br
v_mfma_f32_16x16x4_f32 a[92+0:95+0], v[vgprValuB_X1_I0+0+0+0], v[vgprValuA_X1_I0+10+0+0+1], a[92:95]
 // Ci += Ai*Br
v_mfma_f32_16x16x4_f32 a[20+0:23+0], v[vgprValuB_X1_I0+0+0+0+1], v85, a[20:23]
 // Cr += -Ai*Bi
v_mfma_f32_16x16x4_f32 a[92+0:95+0], v[vgprValuB_X1_I0+0+0+0+1], v[vgprValuA_X1_I0+10+0+0], a[92:95]
 // Ci += Ar*Bi
v_mfma_f32_16x16x4_f32 a[56+0:59+0], v[vgprValuB_X1_I0+2+0+0], v[vgprValuA_X1_I0+10+0+0], a[56:59]
 // Cr += Ar*Br
v_mfma_f32_16x16x4_f32 a[128+0:131+0], v[vgprValuB_X1_I0+2+0+0], v[vgprValuA_X1_I0+10+0+0+1], a[128:131]
 // Ci += Ai*Br
v_mfma_f32_16x16x4_f32 a[56+0:59+0], v[vgprValuB_X1_I0+2+0+0+1], v85, a[56:59]
 // Cr += -Ai*Bi
v_mfma_f32_16x16x4_f32 a[128+0:131+0], v[vgprValuB_X1_I0+2+0+0+1], v[vgprValuA_X1_I0+10+0+0], a[128:131]
 // Ci += Ar*Bi
v_add_f32 v85, -v[vgprValuA_X1_I0+12+0+0+1], 0     // Ai=-Ai
v_mfma_f32_16x16x4_f32 a[24+0:27+0], v[vgprValuB_X1_I0+0+0+0], v[vgprValuA_X1_I0+12+0+0], a[24:27]
 // Cr += Ar*Br
v_mfma_f32_16x16x4_f32 a[96+0:99+0], v[vgprValuB_X1_I0+0+0+0], v[vgprValuA_X1_I0+12+0+0+1], a[96:99]
 // Ci += Ai*Br
v_mfma_f32_16x16x4_f32 a[24+0:27+0], v[vgprValuB_X1_I0+0+0+0+1], v85, a[24:27]
 // Cr += -Ai*Bi
v_mfma_f32_16x16x4_f32 a[96+0:99+0], v[vgprValuB_X1_I0+0+0+0+1], v[vgprValuA_X1_I0+12+0+0], a[96:99]
 // Ci += Ar*Bi
v_mfma_f32_16x16x4_f32 a[60+0:63+0], v[vgprValuB_X1_I0+2+0+0], v[vgprValuA_X1_I0+12+0+0], a[60:63]
 // Cr += Ar*Br
v_mfma_f32_16x16x4_f32 a[132+0:135+0], v[vgprValuB_X1_I0+2+0+0], v[vgprValuA_X1_I0+12+0+0+1], a[132:135]
 // Ci += Ai*Br
v_mfma_f32_16x16x4_f32 a[60+0:63+0], v[vgprValuB_X1_I0+2+0+0+1], v85, a[60:63]
 // Cr += -Ai*Bi
v_mfma_f32_16x16x4_f32 a[132+0:135+0], v[vgprValuB_X1_I0+2+0+0+1], v[vgprValuA_X1_I0+12+0+0], a[132:135]
 // Ci += Ar*Bi
	;; [unrolled: 17-line block ×4, first 2 shown]


/* closeLoop loopL finalLoop=1 tailLoop=1 */
s_sub_i32 s[sgprLoopCounterL], s[sgprLoopCounterL], 0x4 // dec counterL (tailLoop)
s_add_u32 s[sgprOrigLoopCounter], s[sgprOrigLoopCounter], 0x4 // inc counterL
s_cmp_le_i32 s[sgprLoopCounterL], 0x0              // counterL<=0
s_cbranch_scc0 TailLoopBeginL_6                    // restart LoopL
TailLoopEndL_7:

SkipTailLoopL_8:

Summation_End_30:
s_setprio 0                                        // optimization store
/* endSummation: add vgpr [0...82) to pool */
.set NumFullBlocks, UNDEF
.set WgmRemainder1, UNDEF
.set MagicNumberWgmRemainder1, UNDEF
.set ScalarGlobalReadOffsetA, UNDEF
.set ScalarGlobalReadOffsetB, UNDEF

/* Mapping of Acc register -> C Vgpr register */


	;; [unrolled: 1-line block ×3, first 2 shown]
/* not-LocalSplitU: global write indices */

/* computeStoreVgprs */
v_lshrrev_b32 v4, 6, v[vgprSerial]                 // v4 = v[vgprSerial] / 64
v_and_b32 v1, 63, v[vgprSerial]                    // v1 = v[vgprSerial] % 64
v_lshrrev_b32 v1, 4, v1                            // v1 = v1 / 16
v_lshlrev_b32 v1, 0x2, v1                          // thread0 * continuous_output
v_lshrrev_b32 v5, 0, v4                            // v5 = v4 / 1
v_mul_lo_u32 v5, 0x10, v5                          // wave coordination offset 1
_v_add_lshl_u32 v1, v5, v1, 0                      // coordination 1 = vwb *(wave_id1 + tid1)
v_mul_lo_u32 v2, v1, s[sgprStrideC1J]              //  offset 1
v_mul_lo_u32 v3, v1, s[sgprStrideD1J]              //  offset 1
v_and_b32 v5, 0, v4                                // v5 = v4 % 1
v_and_b32 v0, 15, v[vgprSerial]                    // v0 = v[vgprSerial] % 16
_v_add_lshl_u32 v0, v5, v0, 0                      // coordination 0 = vwa *(wave_id0 + tid0)
s_mul_i32 s55, 144, s[sgprWorkGroup0]              // wgp0 * MT0
_v_add_u32 v0, s55, v0                             // coord 0 = (tid0/MI_m)*4 + waveG0*MIB_m + MT0*SG0
s_mul_i32 s55, 128, s[sgprWorkGroup1]              // wgp1 * MT1
_v_add_u32 v1, s55, v1                             // coord 1 = (tid0%MI_m) + waveG1*MIB_n + MT1*SG1


/* not-LocalSplitU: global write */

s_mov_b32 s55, s[sgprBeta+0]                       // tmp = Beta[0]
s_or_b32 s55, s[sgprBeta+1], s55                   // tmp |= Beta[1] 
s_cmpk_eq_u32 s55, 0x0                             // Beta == 0
s_cbranch_scc0 GW_Beta_45                          // Branch if Beta is not zero

s_mov_b32 s59, 0x0                                 // STATIC_DIV: divisior=144
s_mul_i32 s58, 0x38e, s[sgprSizeI]                 // tmp1 = dividend * magic hi
s_lshl_b64 s[58:59], s[58:59], 0x10                // left shift 16 bits
s_mul_i32 s57, s[sgprSizeI], 0x38e4                // tmp0 = dividend * magic lo
s_add_u32 s58, s57, s58                            // add lo
s_addc_u32 s59, s59, 0x0                           // add hi
s_lshr_b64 s[58:59], s[58:59], 0x21                // tmp1 = (dividend * magic) << shift
s_mov_b32 s57, s58                                 // quotient
s_mul_i32 s58, s57, 0x90                           // quotient*divisor
s_sub_u32 s56, s[sgprSizeI], s58                   // rReg = dividend - quotient*divisor
s_add_u32 s57, -0x1, s[sgprNumWorkGroups0]         // 
s_cmp_ge_u32 s[sgprWorkGroup0], s57                // wg0 >= nwg0-1 ?
s_cselect_b32 s56, s56, 0                          // set rMT0
s_cmpk_gt_u32 s56, 0x0                             // rMT0 > 0
s_cbranch_scc1 GW_B0_E1_36                         // jump if edges required
s_and_b32 s56, 127, s[sgprSizeJ]                   // s56 = s[sgprSizeJ] % 128
s_add_u32 s57, -0x1, s[sgprNumWorkGroups1]         // 
s_cmp_ge_u32 s[sgprWorkGroup1], s57                // wg1 >= nwg1-1
s_cselect_b32 s56, s56, 0                          // set rMT1
s_cmpk_gt_u32 s56, 0x0                             // rMT1 > 0
s_cbranch_scc1 GW_B0_E1_36                         // jump if edges required
GW_B0_E0_33:

/* edge=0, allocate 2 sgpr. perBatchTmpS=2 perBatchMaskS=0 perElementMaskS=0 elementsPerBatch=4 */
/* optSingleColVgpr=1 optSharedColVgpr=0 optSGPRUsage=BufferLoad_Mask optSrdIncForRow=1 */
s_sleep 3 // optimization: sync and wait
s_barrier

/******************************************/
/* Global Write Alpha Batch #0 (d1,d0,vc1,vc0) = */
/*    (0,0,0,0:vw1); (0,1,0,0:vw1); (0,2,0,0:vw1); (0,3,0,0:vw1) */
/******************************************/

/* calc coords, apply mask, and issue loads (if necessary) */
/* (d1,vc1,d0,vc0)=(0,0,0,0) */
/* (d1,vc1,d0,vc0)=(0,0,1,0) */
	;; [unrolled: 1-line block ×4, first 2 shown]
_v_add_lshl_u32 v6, v3, v0, 0x3                    // optSingleColVgpr scaleToBpe: sharedAddrVgpr <- cinRowPtr + coord0, scaled by BPE. BSHERE:coord0=0, coord0Vgpr=0
v_accvgpr_read_b32 v[vgprValuC+8], acc0 // copy acc to vreg[0]
v_accvgpr_read_b32 v[vgprValuC+9], acc72 // copy acc to vreg[1]
v_accvgpr_read_b32 v[vgprValuC+10], acc4 // copy acc to vreg[2]
v_accvgpr_read_b32 v[vgprValuC+11], acc76 // copy acc to vreg[3]
v_accvgpr_read_b32 v[vgprValuC+12], acc8 // copy acc to vreg[4]
v_accvgpr_read_b32 v[vgprValuC+13], acc80 // copy acc to vreg[5]
v_accvgpr_read_b32 v[vgprValuC+14], acc12 // copy acc to vreg[6]
v_accvgpr_read_b32 v[vgprValuC+15], acc84 // copy acc to vreg[7]
s_nop 1                                            // 2 wait states required before reading vgpr

/* rC *= alpha batchElements=[(0, 0, 0, 0), (0, 1, 0, 0), (0, 2, 0, 0), (0, 3, 0, 0)] */
v_mov_b32 v16, v[vgprValuC+8]                      // store Cr
v_mul_f32 v[vgprValuC+8], s[sgprAlpha], v[vgprValuC+8] // *= alpha ( Cr = Ar * Cr)
_v_mac_f32 v[vgprValuC+8], -s[sgprAlpha+1], v[vgprValuC+9] // *= alpha ( Cr += -Ai * Ci )
v_mul_f32 v[vgprValuC+9], s[sgprAlpha], v[vgprValuC+9] // *= alpha ( Ci = Ar * Ci)
_v_mac_f32 v[vgprValuC+9], s[sgprAlpha+1], v16     // *= alpha ( Ci += Ai * Cr_backup )
v_mov_b32 v16, v[vgprValuC+10]                     // store Cr
v_mul_f32 v[vgprValuC+10], s[sgprAlpha], v[vgprValuC+10] // *= alpha ( Cr = Ar * Cr)
_v_mac_f32 v[vgprValuC+10], -s[sgprAlpha+1], v[vgprValuC+11] // *= alpha ( Cr += -Ai * Ci )
v_mul_f32 v[vgprValuC+11], s[sgprAlpha], v[vgprValuC+11] // *= alpha ( Ci = Ar * Ci)
_v_mac_f32 v[vgprValuC+11], s[sgprAlpha+1], v16    // *= alpha ( Ci += Ai * Cr_backup )
v_mov_b32 v16, v[vgprValuC+12]                     // store Cr
v_mul_f32 v[vgprValuC+12], s[sgprAlpha], v[vgprValuC+12] // *= alpha ( Cr = Ar * Cr)
_v_mac_f32 v[vgprValuC+12], -s[sgprAlpha+1], v[vgprValuC+13] // *= alpha ( Cr += -Ai * Ci )
v_mul_f32 v[vgprValuC+13], s[sgprAlpha], v[vgprValuC+13] // *= alpha ( Ci = Ar * Ci)
_v_mac_f32 v[vgprValuC+13], s[sgprAlpha+1], v16    // *= alpha ( Ci += Ai * Cr_backup )
	;; [unrolled: 5-line block ×3, first 2 shown]

/* apply mask, calc new C and issue writes */
_buffer_store_b64 v[8:9], v6, s[sgprSrdD:sgprSrdD+3], 0, offen, offset:0,  nt // store D
_buffer_store_b64 v[10:11], v6, s[sgprSrdD:sgprSrdD+3], 0, offen, offset:128,  nt // store D
	;; [unrolled: 1-line block ×4, first 2 shown]
s_nop 0                                            // 1 wait state required when next inst writes vgprs held by previous dwordx4 store inst
/* optSingleColVgpr=1 optSharedColVgpr=0 optSGPRUsage=BufferLoad_Mask optSrdIncForRow=1 */
s_sleep 3 // optimization: sync and wait
s_barrier

/******************************************/
/* Global Write Alpha Batch #1 (d1,d0,vc1,vc0) = */
/*    (0,4,0,0:vw1); (0,5,0,0:vw1); (0,6,0,0:vw1); (0,7,0,0:vw1) */
/******************************************/

/* calc coords, apply mask, and issue loads (if necessary) */
/* (d1,vc1,d0,vc0)=(0,0,4,0) */
/* (d1,vc1,d0,vc0)=(0,0,5,0) */
	;; [unrolled: 1-line block ×4, first 2 shown]
v_accvgpr_read_b32 v[vgprValuC+8], acc16 // copy acc to vreg[8]
v_accvgpr_read_b32 v[vgprValuC+9], acc88 // copy acc to vreg[9]
v_accvgpr_read_b32 v[vgprValuC+10], acc20 // copy acc to vreg[10]
v_accvgpr_read_b32 v[vgprValuC+11], acc92 // copy acc to vreg[11]
v_accvgpr_read_b32 v[vgprValuC+12], acc24 // copy acc to vreg[12]
v_accvgpr_read_b32 v[vgprValuC+13], acc96 // copy acc to vreg[13]
v_accvgpr_read_b32 v[vgprValuC+14], acc28 // copy acc to vreg[14]
v_accvgpr_read_b32 v[vgprValuC+15], acc100 // copy acc to vreg[15]
s_nop 1                                            // 2 wait states required before reading vgpr

/* rC *= alpha batchElements=[(0, 4, 0, 0), (0, 5, 0, 0), (0, 6, 0, 0), (0, 7, 0, 0)] */
v_mov_b32 v16, v[vgprValuC+8]                      // store Cr
v_mul_f32 v[vgprValuC+8], s[sgprAlpha], v[vgprValuC+8] // *= alpha ( Cr = Ar * Cr)
_v_mac_f32 v[vgprValuC+8], -s[sgprAlpha+1], v[vgprValuC+9] // *= alpha ( Cr += -Ai * Ci )
v_mul_f32 v[vgprValuC+9], s[sgprAlpha], v[vgprValuC+9] // *= alpha ( Ci = Ar * Ci)
_v_mac_f32 v[vgprValuC+9], s[sgprAlpha+1], v16     // *= alpha ( Ci += Ai * Cr_backup )
v_mov_b32 v16, v[vgprValuC+10]                     // store Cr
v_mul_f32 v[vgprValuC+10], s[sgprAlpha], v[vgprValuC+10] // *= alpha ( Cr = Ar * Cr)
_v_mac_f32 v[vgprValuC+10], -s[sgprAlpha+1], v[vgprValuC+11] // *= alpha ( Cr += -Ai * Ci )
v_mul_f32 v[vgprValuC+11], s[sgprAlpha], v[vgprValuC+11] // *= alpha ( Ci = Ar * Ci)
_v_mac_f32 v[vgprValuC+11], s[sgprAlpha+1], v16    // *= alpha ( Ci += Ai * Cr_backup )
v_mov_b32 v16, v[vgprValuC+12]                     // store Cr
v_mul_f32 v[vgprValuC+12], s[sgprAlpha], v[vgprValuC+12] // *= alpha ( Cr = Ar * Cr)
_v_mac_f32 v[vgprValuC+12], -s[sgprAlpha+1], v[vgprValuC+13] // *= alpha ( Cr += -Ai * Ci )
v_mul_f32 v[vgprValuC+13], s[sgprAlpha], v[vgprValuC+13] // *= alpha ( Ci = Ar * Ci)
_v_mac_f32 v[vgprValuC+13], s[sgprAlpha+1], v16    // *= alpha ( Ci += Ai * Cr_backup )
	;; [unrolled: 5-line block ×3, first 2 shown]

/* apply mask, calc new C and issue writes */
_buffer_store_b64 v[8:9], v6, s[sgprSrdD:sgprSrdD+3], 0, offen, offset:512,  nt // store D
_buffer_store_b64 v[10:11], v6, s[sgprSrdD:sgprSrdD+3], 0, offen, offset:640,  nt // store D
_buffer_store_b64 v[12:13], v6, s[sgprSrdD:sgprSrdD+3], 0, offen, offset:768,  nt // store D
_buffer_store_b64 v[14:15], v6, s[sgprSrdD:sgprSrdD+3], 0, offen, offset:896,  nt // store D
s_nop 0                                            // 1 wait state required when next inst writes vgprs held by previous dwordx4 store inst
/* optSingleColVgpr=1 optSharedColVgpr=0 optSGPRUsage=BufferLoad_Mask optSrdIncForRow=1 */
s_sleep 3 // optimization: sync and wait
s_barrier

/******************************************/
/* Global Write Alpha Batch #2 (d1,d0,vc1,vc0) = */
/*    (0,8,0,0:vw1); (0,0,1,0:vw1); (0,1,1,0:vw1); (0,2,1,0:vw1) */
/******************************************/

/* calc coords, apply mask, and issue loads (if necessary) */
/* (d1,vc1,d0,vc0)=(0,0,8,0) */
/* (d1,vc1,d0,vc0)=(0,1,0,0) */
	;; [unrolled: 1-line block ×4, first 2 shown]
v_accvgpr_read_b32 v[vgprValuC+8], acc32 // copy acc to vreg[16]
v_accvgpr_read_b32 v[vgprValuC+9], acc104 // copy acc to vreg[17]
v_accvgpr_read_b32 v[vgprValuC+10], acc1 // copy acc to vreg[18]
v_accvgpr_read_b32 v[vgprValuC+11], acc73 // copy acc to vreg[19]
v_accvgpr_read_b32 v[vgprValuC+12], acc5 // copy acc to vreg[20]
v_accvgpr_read_b32 v[vgprValuC+13], acc77 // copy acc to vreg[21]
v_accvgpr_read_b32 v[vgprValuC+14], acc9 // copy acc to vreg[22]
v_accvgpr_read_b32 v[vgprValuC+15], acc81 // copy acc to vreg[23]
s_nop 1                                            // 2 wait states required before reading vgpr

/* rC *= alpha batchElements=[(0, 8, 0, 0), (0, 0, 1, 0), (0, 1, 1, 0), (0, 2, 1, 0)] */
v_mov_b32 v16, v[vgprValuC+8]                      // store Cr
v_mul_f32 v[vgprValuC+8], s[sgprAlpha], v[vgprValuC+8] // *= alpha ( Cr = Ar * Cr)
_v_mac_f32 v[vgprValuC+8], -s[sgprAlpha+1], v[vgprValuC+9] // *= alpha ( Cr += -Ai * Ci )
v_mul_f32 v[vgprValuC+9], s[sgprAlpha], v[vgprValuC+9] // *= alpha ( Ci = Ar * Ci)
_v_mac_f32 v[vgprValuC+9], s[sgprAlpha+1], v16     // *= alpha ( Ci += Ai * Cr_backup )
v_mov_b32 v16, v[vgprValuC+10]                     // store Cr
v_mul_f32 v[vgprValuC+10], s[sgprAlpha], v[vgprValuC+10] // *= alpha ( Cr = Ar * Cr)
_v_mac_f32 v[vgprValuC+10], -s[sgprAlpha+1], v[vgprValuC+11] // *= alpha ( Cr += -Ai * Ci )
v_mul_f32 v[vgprValuC+11], s[sgprAlpha], v[vgprValuC+11] // *= alpha ( Ci = Ar * Ci)
_v_mac_f32 v[vgprValuC+11], s[sgprAlpha+1], v16    // *= alpha ( Ci += Ai * Cr_backup )
v_mov_b32 v16, v[vgprValuC+12]                     // store Cr
v_mul_f32 v[vgprValuC+12], s[sgprAlpha], v[vgprValuC+12] // *= alpha ( Cr = Ar * Cr)
_v_mac_f32 v[vgprValuC+12], -s[sgprAlpha+1], v[vgprValuC+13] // *= alpha ( Cr += -Ai * Ci )
v_mul_f32 v[vgprValuC+13], s[sgprAlpha], v[vgprValuC+13] // *= alpha ( Ci = Ar * Ci)
_v_mac_f32 v[vgprValuC+13], s[sgprAlpha+1], v16    // *= alpha ( Ci += Ai * Cr_backup )
	;; [unrolled: 5-line block ×3, first 2 shown]

/* apply mask, calc new C and issue writes */
_buffer_store_b64 v[8:9], v6, s[sgprSrdD:sgprSrdD+3], 0, offen, offset:1024,  nt // store D
s_lshl_b32  s56, s[sgprStrideD1J], 3               // incToNextRow: Scale by BPE
s_add_u32  s[sgprSrdD+0], s[sgprSrdD+0], s56       // incToNextRow: gra SRD += inc(lower)
s_addc_u32  s[sgprSrdD+1], s[sgprSrdD+1], 0        // incToNextRow: gra SRD += inc(upper)
_buffer_store_b64 v[10:11], v6, s[sgprSrdD:sgprSrdD+3], 0, offen, offset:0,  nt // store D
_buffer_store_b64 v[12:13], v6, s[sgprSrdD:sgprSrdD+3], 0, offen, offset:128,  nt // store D
	;; [unrolled: 1-line block ×3, first 2 shown]
s_nop 0                                            // 1 wait state required when next inst writes vgprs held by previous dwordx4 store inst
/* optSingleColVgpr=1 optSharedColVgpr=0 optSGPRUsage=BufferLoad_Mask optSrdIncForRow=1 */
s_sleep 3 // optimization: sync and wait
s_barrier

/******************************************/
/* Global Write Alpha Batch #3 (d1,d0,vc1,vc0) = */
/*    (0,3,1,0:vw1); (0,4,1,0:vw1); (0,5,1,0:vw1); (0,6,1,0:vw1) */
/******************************************/

/* calc coords, apply mask, and issue loads (if necessary) */
/* (d1,vc1,d0,vc0)=(0,1,3,0) */
/* (d1,vc1,d0,vc0)=(0,1,4,0) */
	;; [unrolled: 1-line block ×4, first 2 shown]
v_accvgpr_read_b32 v[vgprValuC+8], acc13 // copy acc to vreg[24]
v_accvgpr_read_b32 v[vgprValuC+9], acc85 // copy acc to vreg[25]
v_accvgpr_read_b32 v[vgprValuC+10], acc17 // copy acc to vreg[26]
v_accvgpr_read_b32 v[vgprValuC+11], acc89 // copy acc to vreg[27]
v_accvgpr_read_b32 v[vgprValuC+12], acc21 // copy acc to vreg[28]
v_accvgpr_read_b32 v[vgprValuC+13], acc93 // copy acc to vreg[29]
v_accvgpr_read_b32 v[vgprValuC+14], acc25 // copy acc to vreg[30]
v_accvgpr_read_b32 v[vgprValuC+15], acc97 // copy acc to vreg[31]
s_nop 1                                            // 2 wait states required before reading vgpr

/* rC *= alpha batchElements=[(0, 3, 1, 0), (0, 4, 1, 0), (0, 5, 1, 0), (0, 6, 1, 0)] */
v_mov_b32 v16, v[vgprValuC+8]                      // store Cr
v_mul_f32 v[vgprValuC+8], s[sgprAlpha], v[vgprValuC+8] // *= alpha ( Cr = Ar * Cr)
_v_mac_f32 v[vgprValuC+8], -s[sgprAlpha+1], v[vgprValuC+9] // *= alpha ( Cr += -Ai * Ci )
v_mul_f32 v[vgprValuC+9], s[sgprAlpha], v[vgprValuC+9] // *= alpha ( Ci = Ar * Ci)
_v_mac_f32 v[vgprValuC+9], s[sgprAlpha+1], v16     // *= alpha ( Ci += Ai * Cr_backup )
v_mov_b32 v16, v[vgprValuC+10]                     // store Cr
v_mul_f32 v[vgprValuC+10], s[sgprAlpha], v[vgprValuC+10] // *= alpha ( Cr = Ar * Cr)
_v_mac_f32 v[vgprValuC+10], -s[sgprAlpha+1], v[vgprValuC+11] // *= alpha ( Cr += -Ai * Ci )
v_mul_f32 v[vgprValuC+11], s[sgprAlpha], v[vgprValuC+11] // *= alpha ( Ci = Ar * Ci)
_v_mac_f32 v[vgprValuC+11], s[sgprAlpha+1], v16    // *= alpha ( Ci += Ai * Cr_backup )
v_mov_b32 v16, v[vgprValuC+12]                     // store Cr
v_mul_f32 v[vgprValuC+12], s[sgprAlpha], v[vgprValuC+12] // *= alpha ( Cr = Ar * Cr)
_v_mac_f32 v[vgprValuC+12], -s[sgprAlpha+1], v[vgprValuC+13] // *= alpha ( Cr += -Ai * Ci )
v_mul_f32 v[vgprValuC+13], s[sgprAlpha], v[vgprValuC+13] // *= alpha ( Ci = Ar * Ci)
_v_mac_f32 v[vgprValuC+13], s[sgprAlpha+1], v16    // *= alpha ( Ci += Ai * Cr_backup )
	;; [unrolled: 5-line block ×3, first 2 shown]

/* apply mask, calc new C and issue writes */
_buffer_store_b64 v[8:9], v6, s[sgprSrdD:sgprSrdD+3], 0, offen, offset:384,  nt // store D
_buffer_store_b64 v[10:11], v6, s[sgprSrdD:sgprSrdD+3], 0, offen, offset:512,  nt // store D
	;; [unrolled: 1-line block ×4, first 2 shown]
s_nop 0                                            // 1 wait state required when next inst writes vgprs held by previous dwordx4 store inst
/* optSingleColVgpr=1 optSharedColVgpr=0 optSGPRUsage=BufferLoad_Mask optSrdIncForRow=1 */
s_sleep 3 // optimization: sync and wait
s_barrier

/******************************************/
/* Global Write Alpha Batch #4 (d1,d0,vc1,vc0) = */
/*    (0,7,1,0:vw1); (0,8,1,0:vw1); (0,0,2,0:vw1); (0,1,2,0:vw1) */
/******************************************/

/* calc coords, apply mask, and issue loads (if necessary) */
/* (d1,vc1,d0,vc0)=(0,1,7,0) */
/* (d1,vc1,d0,vc0)=(0,1,8,0) */
	;; [unrolled: 1-line block ×4, first 2 shown]
v_accvgpr_read_b32 v[vgprValuC+8], acc29 // copy acc to vreg[32]
v_accvgpr_read_b32 v[vgprValuC+9], acc101 // copy acc to vreg[33]
v_accvgpr_read_b32 v[vgprValuC+10], acc33 // copy acc to vreg[34]
v_accvgpr_read_b32 v[vgprValuC+11], acc105 // copy acc to vreg[35]
v_accvgpr_read_b32 v[vgprValuC+12], acc2 // copy acc to vreg[36]
v_accvgpr_read_b32 v[vgprValuC+13], acc74 // copy acc to vreg[37]
v_accvgpr_read_b32 v[vgprValuC+14], acc6 // copy acc to vreg[38]
v_accvgpr_read_b32 v[vgprValuC+15], acc78 // copy acc to vreg[39]
s_nop 1                                            // 2 wait states required before reading vgpr

/* rC *= alpha batchElements=[(0, 7, 1, 0), (0, 8, 1, 0), (0, 0, 2, 0), (0, 1, 2, 0)] */
v_mov_b32 v16, v[vgprValuC+8]                      // store Cr
v_mul_f32 v[vgprValuC+8], s[sgprAlpha], v[vgprValuC+8] // *= alpha ( Cr = Ar * Cr)
_v_mac_f32 v[vgprValuC+8], -s[sgprAlpha+1], v[vgprValuC+9] // *= alpha ( Cr += -Ai * Ci )
v_mul_f32 v[vgprValuC+9], s[sgprAlpha], v[vgprValuC+9] // *= alpha ( Ci = Ar * Ci)
_v_mac_f32 v[vgprValuC+9], s[sgprAlpha+1], v16     // *= alpha ( Ci += Ai * Cr_backup )
v_mov_b32 v16, v[vgprValuC+10]                     // store Cr
v_mul_f32 v[vgprValuC+10], s[sgprAlpha], v[vgprValuC+10] // *= alpha ( Cr = Ar * Cr)
_v_mac_f32 v[vgprValuC+10], -s[sgprAlpha+1], v[vgprValuC+11] // *= alpha ( Cr += -Ai * Ci )
v_mul_f32 v[vgprValuC+11], s[sgprAlpha], v[vgprValuC+11] // *= alpha ( Ci = Ar * Ci)
_v_mac_f32 v[vgprValuC+11], s[sgprAlpha+1], v16    // *= alpha ( Ci += Ai * Cr_backup )
v_mov_b32 v16, v[vgprValuC+12]                     // store Cr
v_mul_f32 v[vgprValuC+12], s[sgprAlpha], v[vgprValuC+12] // *= alpha ( Cr = Ar * Cr)
_v_mac_f32 v[vgprValuC+12], -s[sgprAlpha+1], v[vgprValuC+13] // *= alpha ( Cr += -Ai * Ci )
v_mul_f32 v[vgprValuC+13], s[sgprAlpha], v[vgprValuC+13] // *= alpha ( Ci = Ar * Ci)
_v_mac_f32 v[vgprValuC+13], s[sgprAlpha+1], v16    // *= alpha ( Ci += Ai * Cr_backup )
	;; [unrolled: 5-line block ×3, first 2 shown]

/* apply mask, calc new C and issue writes */
_buffer_store_b64 v[8:9], v6, s[sgprSrdD:sgprSrdD+3], 0, offen, offset:896,  nt // store D
_buffer_store_b64 v[10:11], v6, s[sgprSrdD:sgprSrdD+3], 0, offen, offset:1024,  nt // store D
s_lshl_b32  s56, s[sgprStrideD1J], 3               // incToNextRow: Scale by BPE
s_add_u32  s[sgprSrdD+0], s[sgprSrdD+0], s56       // incToNextRow: gra SRD += inc(lower)
s_addc_u32  s[sgprSrdD+1], s[sgprSrdD+1], 0        // incToNextRow: gra SRD += inc(upper)
_buffer_store_b64 v[12:13], v6, s[sgprSrdD:sgprSrdD+3], 0, offen, offset:0,  nt // store D
_buffer_store_b64 v[14:15], v6, s[sgprSrdD:sgprSrdD+3], 0, offen, offset:128,  nt // store D
s_nop 0                                            // 1 wait state required when next inst writes vgprs held by previous dwordx4 store inst
/* optSingleColVgpr=1 optSharedColVgpr=0 optSGPRUsage=BufferLoad_Mask optSrdIncForRow=1 */
s_sleep 3 // optimization: sync and wait
s_barrier

/******************************************/
/* Global Write Alpha Batch #5 (d1,d0,vc1,vc0) = */
/*    (0,2,2,0:vw1); (0,3,2,0:vw1); (0,4,2,0:vw1); (0,5,2,0:vw1) */
/******************************************/

/* calc coords, apply mask, and issue loads (if necessary) */
/* (d1,vc1,d0,vc0)=(0,2,2,0) */
/* (d1,vc1,d0,vc0)=(0,2,3,0) */
	;; [unrolled: 1-line block ×4, first 2 shown]
v_accvgpr_read_b32 v[vgprValuC+8], acc10 // copy acc to vreg[40]
v_accvgpr_read_b32 v[vgprValuC+9], acc82 // copy acc to vreg[41]
v_accvgpr_read_b32 v[vgprValuC+10], acc14 // copy acc to vreg[42]
v_accvgpr_read_b32 v[vgprValuC+11], acc86 // copy acc to vreg[43]
v_accvgpr_read_b32 v[vgprValuC+12], acc18 // copy acc to vreg[44]
v_accvgpr_read_b32 v[vgprValuC+13], acc90 // copy acc to vreg[45]
v_accvgpr_read_b32 v[vgprValuC+14], acc22 // copy acc to vreg[46]
v_accvgpr_read_b32 v[vgprValuC+15], acc94 // copy acc to vreg[47]
s_nop 1                                            // 2 wait states required before reading vgpr

/* rC *= alpha batchElements=[(0, 2, 2, 0), (0, 3, 2, 0), (0, 4, 2, 0), (0, 5, 2, 0)] */
v_mov_b32 v16, v[vgprValuC+8]                      // store Cr
v_mul_f32 v[vgprValuC+8], s[sgprAlpha], v[vgprValuC+8] // *= alpha ( Cr = Ar * Cr)
_v_mac_f32 v[vgprValuC+8], -s[sgprAlpha+1], v[vgprValuC+9] // *= alpha ( Cr += -Ai * Ci )
v_mul_f32 v[vgprValuC+9], s[sgprAlpha], v[vgprValuC+9] // *= alpha ( Ci = Ar * Ci)
_v_mac_f32 v[vgprValuC+9], s[sgprAlpha+1], v16     // *= alpha ( Ci += Ai * Cr_backup )
v_mov_b32 v16, v[vgprValuC+10]                     // store Cr
v_mul_f32 v[vgprValuC+10], s[sgprAlpha], v[vgprValuC+10] // *= alpha ( Cr = Ar * Cr)
_v_mac_f32 v[vgprValuC+10], -s[sgprAlpha+1], v[vgprValuC+11] // *= alpha ( Cr += -Ai * Ci )
v_mul_f32 v[vgprValuC+11], s[sgprAlpha], v[vgprValuC+11] // *= alpha ( Ci = Ar * Ci)
_v_mac_f32 v[vgprValuC+11], s[sgprAlpha+1], v16    // *= alpha ( Ci += Ai * Cr_backup )
v_mov_b32 v16, v[vgprValuC+12]                     // store Cr
v_mul_f32 v[vgprValuC+12], s[sgprAlpha], v[vgprValuC+12] // *= alpha ( Cr = Ar * Cr)
_v_mac_f32 v[vgprValuC+12], -s[sgprAlpha+1], v[vgprValuC+13] // *= alpha ( Cr += -Ai * Ci )
v_mul_f32 v[vgprValuC+13], s[sgprAlpha], v[vgprValuC+13] // *= alpha ( Ci = Ar * Ci)
_v_mac_f32 v[vgprValuC+13], s[sgprAlpha+1], v16    // *= alpha ( Ci += Ai * Cr_backup )
	;; [unrolled: 5-line block ×3, first 2 shown]

/* apply mask, calc new C and issue writes */
_buffer_store_b64 v[8:9], v6, s[sgprSrdD:sgprSrdD+3], 0, offen, offset:256,  nt // store D
_buffer_store_b64 v[10:11], v6, s[sgprSrdD:sgprSrdD+3], 0, offen, offset:384,  nt // store D
	;; [unrolled: 1-line block ×4, first 2 shown]
s_nop 0                                            // 1 wait state required when next inst writes vgprs held by previous dwordx4 store inst
/* optSingleColVgpr=1 optSharedColVgpr=0 optSGPRUsage=BufferLoad_Mask optSrdIncForRow=1 */
s_sleep 3 // optimization: sync and wait
s_barrier

/******************************************/
/* Global Write Alpha Batch #6 (d1,d0,vc1,vc0) = */
/*    (0,6,2,0:vw1); (0,7,2,0:vw1); (0,8,2,0:vw1); (0,0,3,0:vw1) */
/******************************************/

/* calc coords, apply mask, and issue loads (if necessary) */
/* (d1,vc1,d0,vc0)=(0,2,6,0) */
/* (d1,vc1,d0,vc0)=(0,2,7,0) */
	;; [unrolled: 1-line block ×4, first 2 shown]
v_accvgpr_read_b32 v[vgprValuC+8], acc26 // copy acc to vreg[48]
v_accvgpr_read_b32 v[vgprValuC+9], acc98 // copy acc to vreg[49]
v_accvgpr_read_b32 v[vgprValuC+10], acc30 // copy acc to vreg[50]
v_accvgpr_read_b32 v[vgprValuC+11], acc102 // copy acc to vreg[51]
v_accvgpr_read_b32 v[vgprValuC+12], acc34 // copy acc to vreg[52]
v_accvgpr_read_b32 v[vgprValuC+13], acc106 // copy acc to vreg[53]
v_accvgpr_read_b32 v[vgprValuC+14], acc3 // copy acc to vreg[54]
v_accvgpr_read_b32 v[vgprValuC+15], acc75 // copy acc to vreg[55]
s_nop 1                                            // 2 wait states required before reading vgpr

/* rC *= alpha batchElements=[(0, 6, 2, 0), (0, 7, 2, 0), (0, 8, 2, 0), (0, 0, 3, 0)] */
v_mov_b32 v16, v[vgprValuC+8]                      // store Cr
v_mul_f32 v[vgprValuC+8], s[sgprAlpha], v[vgprValuC+8] // *= alpha ( Cr = Ar * Cr)
_v_mac_f32 v[vgprValuC+8], -s[sgprAlpha+1], v[vgprValuC+9] // *= alpha ( Cr += -Ai * Ci )
v_mul_f32 v[vgprValuC+9], s[sgprAlpha], v[vgprValuC+9] // *= alpha ( Ci = Ar * Ci)
_v_mac_f32 v[vgprValuC+9], s[sgprAlpha+1], v16     // *= alpha ( Ci += Ai * Cr_backup )
v_mov_b32 v16, v[vgprValuC+10]                     // store Cr
v_mul_f32 v[vgprValuC+10], s[sgprAlpha], v[vgprValuC+10] // *= alpha ( Cr = Ar * Cr)
_v_mac_f32 v[vgprValuC+10], -s[sgprAlpha+1], v[vgprValuC+11] // *= alpha ( Cr += -Ai * Ci )
v_mul_f32 v[vgprValuC+11], s[sgprAlpha], v[vgprValuC+11] // *= alpha ( Ci = Ar * Ci)
_v_mac_f32 v[vgprValuC+11], s[sgprAlpha+1], v16    // *= alpha ( Ci += Ai * Cr_backup )
v_mov_b32 v16, v[vgprValuC+12]                     // store Cr
v_mul_f32 v[vgprValuC+12], s[sgprAlpha], v[vgprValuC+12] // *= alpha ( Cr = Ar * Cr)
_v_mac_f32 v[vgprValuC+12], -s[sgprAlpha+1], v[vgprValuC+13] // *= alpha ( Cr += -Ai * Ci )
v_mul_f32 v[vgprValuC+13], s[sgprAlpha], v[vgprValuC+13] // *= alpha ( Ci = Ar * Ci)
_v_mac_f32 v[vgprValuC+13], s[sgprAlpha+1], v16    // *= alpha ( Ci += Ai * Cr_backup )
	;; [unrolled: 5-line block ×3, first 2 shown]

/* apply mask, calc new C and issue writes */
_buffer_store_b64 v[8:9], v6, s[sgprSrdD:sgprSrdD+3], 0, offen, offset:768,  nt // store D
_buffer_store_b64 v[10:11], v6, s[sgprSrdD:sgprSrdD+3], 0, offen, offset:896,  nt // store D
	;; [unrolled: 1-line block ×3, first 2 shown]
s_lshl_b32  s56, s[sgprStrideD1J], 3               // incToNextRow: Scale by BPE
s_add_u32  s[sgprSrdD+0], s[sgprSrdD+0], s56       // incToNextRow: gra SRD += inc(lower)
s_addc_u32  s[sgprSrdD+1], s[sgprSrdD+1], 0        // incToNextRow: gra SRD += inc(upper)
_buffer_store_b64 v[14:15], v6, s[sgprSrdD:sgprSrdD+3], 0, offen, offset:0,  nt // store D
s_nop 0                                            // 1 wait state required when next inst writes vgprs held by previous dwordx4 store inst
/* optSingleColVgpr=1 optSharedColVgpr=0 optSGPRUsage=BufferLoad_Mask optSrdIncForRow=1 */
s_sleep 3 // optimization: sync and wait
s_barrier

/******************************************/
/* Global Write Alpha Batch #7 (d1,d0,vc1,vc0) = */
/*    (0,1,3,0:vw1); (0,2,3,0:vw1); (0,3,3,0:vw1); (0,4,3,0:vw1) */
/******************************************/

/* calc coords, apply mask, and issue loads (if necessary) */
/* (d1,vc1,d0,vc0)=(0,3,1,0) */
/* (d1,vc1,d0,vc0)=(0,3,2,0) */
	;; [unrolled: 1-line block ×4, first 2 shown]
v_accvgpr_read_b32 v[vgprValuC+8], acc7 // copy acc to vreg[56]
v_accvgpr_read_b32 v[vgprValuC+9], acc79 // copy acc to vreg[57]
v_accvgpr_read_b32 v[vgprValuC+10], acc11 // copy acc to vreg[58]
v_accvgpr_read_b32 v[vgprValuC+11], acc83 // copy acc to vreg[59]
v_accvgpr_read_b32 v[vgprValuC+12], acc15 // copy acc to vreg[60]
v_accvgpr_read_b32 v[vgprValuC+13], acc87 // copy acc to vreg[61]
v_accvgpr_read_b32 v[vgprValuC+14], acc19 // copy acc to vreg[62]
v_accvgpr_read_b32 v[vgprValuC+15], acc91 // copy acc to vreg[63]
s_nop 1                                            // 2 wait states required before reading vgpr

/* rC *= alpha batchElements=[(0, 1, 3, 0), (0, 2, 3, 0), (0, 3, 3, 0), (0, 4, 3, 0)] */
v_mov_b32 v16, v[vgprValuC+8]                      // store Cr
v_mul_f32 v[vgprValuC+8], s[sgprAlpha], v[vgprValuC+8] // *= alpha ( Cr = Ar * Cr)
_v_mac_f32 v[vgprValuC+8], -s[sgprAlpha+1], v[vgprValuC+9] // *= alpha ( Cr += -Ai * Ci )
v_mul_f32 v[vgprValuC+9], s[sgprAlpha], v[vgprValuC+9] // *= alpha ( Ci = Ar * Ci)
_v_mac_f32 v[vgprValuC+9], s[sgprAlpha+1], v16     // *= alpha ( Ci += Ai * Cr_backup )
v_mov_b32 v16, v[vgprValuC+10]                     // store Cr
v_mul_f32 v[vgprValuC+10], s[sgprAlpha], v[vgprValuC+10] // *= alpha ( Cr = Ar * Cr)
_v_mac_f32 v[vgprValuC+10], -s[sgprAlpha+1], v[vgprValuC+11] // *= alpha ( Cr += -Ai * Ci )
v_mul_f32 v[vgprValuC+11], s[sgprAlpha], v[vgprValuC+11] // *= alpha ( Ci = Ar * Ci)
_v_mac_f32 v[vgprValuC+11], s[sgprAlpha+1], v16    // *= alpha ( Ci += Ai * Cr_backup )
v_mov_b32 v16, v[vgprValuC+12]                     // store Cr
v_mul_f32 v[vgprValuC+12], s[sgprAlpha], v[vgprValuC+12] // *= alpha ( Cr = Ar * Cr)
_v_mac_f32 v[vgprValuC+12], -s[sgprAlpha+1], v[vgprValuC+13] // *= alpha ( Cr += -Ai * Ci )
v_mul_f32 v[vgprValuC+13], s[sgprAlpha], v[vgprValuC+13] // *= alpha ( Ci = Ar * Ci)
_v_mac_f32 v[vgprValuC+13], s[sgprAlpha+1], v16    // *= alpha ( Ci += Ai * Cr_backup )
	;; [unrolled: 5-line block ×3, first 2 shown]

/* apply mask, calc new C and issue writes */
_buffer_store_b64 v[8:9], v6, s[sgprSrdD:sgprSrdD+3], 0, offen, offset:128,  nt // store D
_buffer_store_b64 v[10:11], v6, s[sgprSrdD:sgprSrdD+3], 0, offen, offset:256,  nt // store D
	;; [unrolled: 1-line block ×4, first 2 shown]
s_nop 0                                            // 1 wait state required when next inst writes vgprs held by previous dwordx4 store inst
/* optSingleColVgpr=1 optSharedColVgpr=0 optSGPRUsage=BufferLoad_Mask optSrdIncForRow=1 */
s_sleep 3 // optimization: sync and wait
s_barrier

/******************************************/
/* Global Write Alpha Batch #8 (d1,d0,vc1,vc0) = */
/*    (0,5,3,0:vw1); (0,6,3,0:vw1); (0,7,3,0:vw1); (0,8,3,0:vw1) */
/******************************************/

/* calc coords, apply mask, and issue loads (if necessary) */
/* (d1,vc1,d0,vc0)=(0,3,5,0) */
/* (d1,vc1,d0,vc0)=(0,3,6,0) */
	;; [unrolled: 1-line block ×4, first 2 shown]
v_accvgpr_read_b32 v[vgprValuC+8], acc23 // copy acc to vreg[64]
v_accvgpr_read_b32 v[vgprValuC+9], acc95 // copy acc to vreg[65]
v_accvgpr_read_b32 v[vgprValuC+10], acc27 // copy acc to vreg[66]
v_accvgpr_read_b32 v[vgprValuC+11], acc99 // copy acc to vreg[67]
v_accvgpr_read_b32 v[vgprValuC+12], acc31 // copy acc to vreg[68]
v_accvgpr_read_b32 v[vgprValuC+13], acc103 // copy acc to vreg[69]
v_accvgpr_read_b32 v[vgprValuC+14], acc35 // copy acc to vreg[70]
v_accvgpr_read_b32 v[vgprValuC+15], acc107 // copy acc to vreg[71]
s_nop 1                                            // 2 wait states required before reading vgpr

/* rC *= alpha batchElements=[(0, 5, 3, 0), (0, 6, 3, 0), (0, 7, 3, 0), (0, 8, 3, 0)] */
v_mov_b32 v16, v[vgprValuC+8]                      // store Cr
v_mul_f32 v[vgprValuC+8], s[sgprAlpha], v[vgprValuC+8] // *= alpha ( Cr = Ar * Cr)
_v_mac_f32 v[vgprValuC+8], -s[sgprAlpha+1], v[vgprValuC+9] // *= alpha ( Cr += -Ai * Ci )
v_mul_f32 v[vgprValuC+9], s[sgprAlpha], v[vgprValuC+9] // *= alpha ( Ci = Ar * Ci)
_v_mac_f32 v[vgprValuC+9], s[sgprAlpha+1], v16     // *= alpha ( Ci += Ai * Cr_backup )
v_mov_b32 v16, v[vgprValuC+10]                     // store Cr
v_mul_f32 v[vgprValuC+10], s[sgprAlpha], v[vgprValuC+10] // *= alpha ( Cr = Ar * Cr)
_v_mac_f32 v[vgprValuC+10], -s[sgprAlpha+1], v[vgprValuC+11] // *= alpha ( Cr += -Ai * Ci )
v_mul_f32 v[vgprValuC+11], s[sgprAlpha], v[vgprValuC+11] // *= alpha ( Ci = Ar * Ci)
_v_mac_f32 v[vgprValuC+11], s[sgprAlpha+1], v16    // *= alpha ( Ci += Ai * Cr_backup )
v_mov_b32 v16, v[vgprValuC+12]                     // store Cr
v_mul_f32 v[vgprValuC+12], s[sgprAlpha], v[vgprValuC+12] // *= alpha ( Cr = Ar * Cr)
_v_mac_f32 v[vgprValuC+12], -s[sgprAlpha+1], v[vgprValuC+13] // *= alpha ( Cr += -Ai * Ci )
v_mul_f32 v[vgprValuC+13], s[sgprAlpha], v[vgprValuC+13] // *= alpha ( Ci = Ar * Ci)
_v_mac_f32 v[vgprValuC+13], s[sgprAlpha+1], v16    // *= alpha ( Ci += Ai * Cr_backup )
	;; [unrolled: 5-line block ×3, first 2 shown]

/* apply mask, calc new C and issue writes */
_buffer_store_b64 v[8:9], v6, s[sgprSrdD:sgprSrdD+3], 0, offen, offset:640,  nt // store D
_buffer_store_b64 v[10:11], v6, s[sgprSrdD:sgprSrdD+3], 0, offen, offset:768,  nt // store D
	;; [unrolled: 1-line block ×4, first 2 shown]
s_nop 0                                            // 1 wait state required when next inst writes vgprs held by previous dwordx4 store inst
/* optSingleColVgpr=1 optSharedColVgpr=0 optSGPRUsage=BufferLoad_Mask optSrdIncForRow=1 */
s_sleep 3 // optimization: sync and wait
s_barrier

/******************************************/
/* Global Write Alpha Batch #9 (d1,d0,vc1,vc0) = */
/*    (1,0,0,0:vw1); (1,1,0,0:vw1); (1,2,0,0:vw1); (1,3,0,0:vw1) */
/******************************************/

/* calc coords, apply mask, and issue loads (if necessary) */
/* (d1,vc1,d0,vc0)=(1,0,0,0) */
/* (d1,vc1,d0,vc0)=(1,0,1,0) */
	;; [unrolled: 1-line block ×4, first 2 shown]
v_accvgpr_read_b32 v[vgprValuC+8], acc36 // copy acc to vreg[72]
v_accvgpr_read_b32 v[vgprValuC+9], acc108 // copy acc to vreg[73]
v_accvgpr_read_b32 v[vgprValuC+10], acc40 // copy acc to vreg[74]
v_accvgpr_read_b32 v[vgprValuC+11], acc112 // copy acc to vreg[75]
v_accvgpr_read_b32 v[vgprValuC+12], acc44 // copy acc to vreg[76]
v_accvgpr_read_b32 v[vgprValuC+13], acc116 // copy acc to vreg[77]
v_accvgpr_read_b32 v[vgprValuC+14], acc48 // copy acc to vreg[78]
v_accvgpr_read_b32 v[vgprValuC+15], acc120 // copy acc to vreg[79]
s_nop 1                                            // 2 wait states required before reading vgpr

/* rC *= alpha batchElements=[(1, 0, 0, 0), (1, 1, 0, 0), (1, 2, 0, 0), (1, 3, 0, 0)] */
v_mov_b32 v16, v[vgprValuC+8]                      // store Cr
v_mul_f32 v[vgprValuC+8], s[sgprAlpha], v[vgprValuC+8] // *= alpha ( Cr = Ar * Cr)
_v_mac_f32 v[vgprValuC+8], -s[sgprAlpha+1], v[vgprValuC+9] // *= alpha ( Cr += -Ai * Ci )
v_mul_f32 v[vgprValuC+9], s[sgprAlpha], v[vgprValuC+9] // *= alpha ( Ci = Ar * Ci)
_v_mac_f32 v[vgprValuC+9], s[sgprAlpha+1], v16     // *= alpha ( Ci += Ai * Cr_backup )
v_mov_b32 v16, v[vgprValuC+10]                     // store Cr
v_mul_f32 v[vgprValuC+10], s[sgprAlpha], v[vgprValuC+10] // *= alpha ( Cr = Ar * Cr)
_v_mac_f32 v[vgprValuC+10], -s[sgprAlpha+1], v[vgprValuC+11] // *= alpha ( Cr += -Ai * Ci )
v_mul_f32 v[vgprValuC+11], s[sgprAlpha], v[vgprValuC+11] // *= alpha ( Ci = Ar * Ci)
_v_mac_f32 v[vgprValuC+11], s[sgprAlpha+1], v16    // *= alpha ( Ci += Ai * Cr_backup )
v_mov_b32 v16, v[vgprValuC+12]                     // store Cr
v_mul_f32 v[vgprValuC+12], s[sgprAlpha], v[vgprValuC+12] // *= alpha ( Cr = Ar * Cr)
_v_mac_f32 v[vgprValuC+12], -s[sgprAlpha+1], v[vgprValuC+13] // *= alpha ( Cr += -Ai * Ci )
v_mul_f32 v[vgprValuC+13], s[sgprAlpha], v[vgprValuC+13] // *= alpha ( Ci = Ar * Ci)
_v_mac_f32 v[vgprValuC+13], s[sgprAlpha+1], v16    // *= alpha ( Ci += Ai * Cr_backup )
	;; [unrolled: 5-line block ×3, first 2 shown]

/* apply mask, calc new C and issue writes */
s_mul_i32 s56, s[sgprStrideD1J], 488               // scale StrideD *= numRows(61) * bpe
s_add_u32  s[sgprSrdD+0], s[sgprSrdD+0], s56       // incToNextRow: gra SRD += inc(lower)
s_addc_u32  s[sgprSrdD+1], s[sgprSrdD+1], 0        // incToNextRow: gra SRD += inc(upper)
_buffer_store_b64 v[8:9], v6, s[sgprSrdD:sgprSrdD+3], 0, offen, offset:0,  nt // store D
_buffer_store_b64 v[10:11], v6, s[sgprSrdD:sgprSrdD+3], 0, offen, offset:128,  nt // store D
	;; [unrolled: 1-line block ×4, first 2 shown]
s_nop 0                                            // 1 wait state required when next inst writes vgprs held by previous dwordx4 store inst
/* optSingleColVgpr=1 optSharedColVgpr=0 optSGPRUsage=BufferLoad_Mask optSrdIncForRow=1 */
s_sleep 3 // optimization: sync and wait
s_barrier

/******************************************/
/* Global Write Alpha Batch #10 (d1,d0,vc1,vc0) = */
/*    (1,4,0,0:vw1); (1,5,0,0:vw1); (1,6,0,0:vw1); (1,7,0,0:vw1) */
/******************************************/

/* calc coords, apply mask, and issue loads (if necessary) */
/* (d1,vc1,d0,vc0)=(1,0,4,0) */
/* (d1,vc1,d0,vc0)=(1,0,5,0) */
	;; [unrolled: 1-line block ×4, first 2 shown]
v_accvgpr_read_b32 v[vgprValuC+8], acc52 // copy acc to vreg[80]
v_accvgpr_read_b32 v[vgprValuC+9], acc124 // copy acc to vreg[81]
v_accvgpr_read_b32 v[vgprValuC+10], acc56 // copy acc to vreg[82]
v_accvgpr_read_b32 v[vgprValuC+11], acc128 // copy acc to vreg[83]
v_accvgpr_read_b32 v[vgprValuC+12], acc60 // copy acc to vreg[84]
v_accvgpr_read_b32 v[vgprValuC+13], acc132 // copy acc to vreg[85]
v_accvgpr_read_b32 v[vgprValuC+14], acc64 // copy acc to vreg[86]
v_accvgpr_read_b32 v[vgprValuC+15], acc136 // copy acc to vreg[87]
s_nop 1                                            // 2 wait states required before reading vgpr

/* rC *= alpha batchElements=[(1, 4, 0, 0), (1, 5, 0, 0), (1, 6, 0, 0), (1, 7, 0, 0)] */
v_mov_b32 v16, v[vgprValuC+8]                      // store Cr
v_mul_f32 v[vgprValuC+8], s[sgprAlpha], v[vgprValuC+8] // *= alpha ( Cr = Ar * Cr)
_v_mac_f32 v[vgprValuC+8], -s[sgprAlpha+1], v[vgprValuC+9] // *= alpha ( Cr += -Ai * Ci )
v_mul_f32 v[vgprValuC+9], s[sgprAlpha], v[vgprValuC+9] // *= alpha ( Ci = Ar * Ci)
_v_mac_f32 v[vgprValuC+9], s[sgprAlpha+1], v16     // *= alpha ( Ci += Ai * Cr_backup )
v_mov_b32 v16, v[vgprValuC+10]                     // store Cr
v_mul_f32 v[vgprValuC+10], s[sgprAlpha], v[vgprValuC+10] // *= alpha ( Cr = Ar * Cr)
_v_mac_f32 v[vgprValuC+10], -s[sgprAlpha+1], v[vgprValuC+11] // *= alpha ( Cr += -Ai * Ci )
v_mul_f32 v[vgprValuC+11], s[sgprAlpha], v[vgprValuC+11] // *= alpha ( Ci = Ar * Ci)
_v_mac_f32 v[vgprValuC+11], s[sgprAlpha+1], v16    // *= alpha ( Ci += Ai * Cr_backup )
v_mov_b32 v16, v[vgprValuC+12]                     // store Cr
v_mul_f32 v[vgprValuC+12], s[sgprAlpha], v[vgprValuC+12] // *= alpha ( Cr = Ar * Cr)
_v_mac_f32 v[vgprValuC+12], -s[sgprAlpha+1], v[vgprValuC+13] // *= alpha ( Cr += -Ai * Ci )
v_mul_f32 v[vgprValuC+13], s[sgprAlpha], v[vgprValuC+13] // *= alpha ( Ci = Ar * Ci)
_v_mac_f32 v[vgprValuC+13], s[sgprAlpha+1], v16    // *= alpha ( Ci += Ai * Cr_backup )
	;; [unrolled: 5-line block ×3, first 2 shown]

/* apply mask, calc new C and issue writes */
_buffer_store_b64 v[8:9], v6, s[sgprSrdD:sgprSrdD+3], 0, offen, offset:512,  nt // store D
_buffer_store_b64 v[10:11], v6, s[sgprSrdD:sgprSrdD+3], 0, offen, offset:640,  nt // store D
_buffer_store_b64 v[12:13], v6, s[sgprSrdD:sgprSrdD+3], 0, offen, offset:768,  nt // store D
_buffer_store_b64 v[14:15], v6, s[sgprSrdD:sgprSrdD+3], 0, offen, offset:896,  nt // store D
s_nop 0                                            // 1 wait state required when next inst writes vgprs held by previous dwordx4 store inst
/* optSingleColVgpr=1 optSharedColVgpr=0 optSGPRUsage=BufferLoad_Mask optSrdIncForRow=1 */
s_sleep 3 // optimization: sync and wait
s_barrier

/******************************************/
/* Global Write Alpha Batch #11 (d1,d0,vc1,vc0) = */
/*    (1,8,0,0:vw1); (1,0,1,0:vw1); (1,1,1,0:vw1); (1,2,1,0:vw1) */
/******************************************/

/* calc coords, apply mask, and issue loads (if necessary) */
/* (d1,vc1,d0,vc0)=(1,0,8,0) */
/* (d1,vc1,d0,vc0)=(1,1,0,0) */
	;; [unrolled: 1-line block ×4, first 2 shown]
v_accvgpr_read_b32 v[vgprValuC+8], acc68 // copy acc to vreg[88]
v_accvgpr_read_b32 v[vgprValuC+9], acc140 // copy acc to vreg[89]
v_accvgpr_read_b32 v[vgprValuC+10], acc37 // copy acc to vreg[90]
v_accvgpr_read_b32 v[vgprValuC+11], acc109 // copy acc to vreg[91]
v_accvgpr_read_b32 v[vgprValuC+12], acc41 // copy acc to vreg[92]
v_accvgpr_read_b32 v[vgprValuC+13], acc113 // copy acc to vreg[93]
v_accvgpr_read_b32 v[vgprValuC+14], acc45 // copy acc to vreg[94]
v_accvgpr_read_b32 v[vgprValuC+15], acc117 // copy acc to vreg[95]
s_nop 1                                            // 2 wait states required before reading vgpr

/* rC *= alpha batchElements=[(1, 8, 0, 0), (1, 0, 1, 0), (1, 1, 1, 0), (1, 2, 1, 0)] */
v_mov_b32 v16, v[vgprValuC+8]                      // store Cr
v_mul_f32 v[vgprValuC+8], s[sgprAlpha], v[vgprValuC+8] // *= alpha ( Cr = Ar * Cr)
_v_mac_f32 v[vgprValuC+8], -s[sgprAlpha+1], v[vgprValuC+9] // *= alpha ( Cr += -Ai * Ci )
v_mul_f32 v[vgprValuC+9], s[sgprAlpha], v[vgprValuC+9] // *= alpha ( Ci = Ar * Ci)
_v_mac_f32 v[vgprValuC+9], s[sgprAlpha+1], v16     // *= alpha ( Ci += Ai * Cr_backup )
v_mov_b32 v16, v[vgprValuC+10]                     // store Cr
v_mul_f32 v[vgprValuC+10], s[sgprAlpha], v[vgprValuC+10] // *= alpha ( Cr = Ar * Cr)
_v_mac_f32 v[vgprValuC+10], -s[sgprAlpha+1], v[vgprValuC+11] // *= alpha ( Cr += -Ai * Ci )
v_mul_f32 v[vgprValuC+11], s[sgprAlpha], v[vgprValuC+11] // *= alpha ( Ci = Ar * Ci)
_v_mac_f32 v[vgprValuC+11], s[sgprAlpha+1], v16    // *= alpha ( Ci += Ai * Cr_backup )
v_mov_b32 v16, v[vgprValuC+12]                     // store Cr
v_mul_f32 v[vgprValuC+12], s[sgprAlpha], v[vgprValuC+12] // *= alpha ( Cr = Ar * Cr)
_v_mac_f32 v[vgprValuC+12], -s[sgprAlpha+1], v[vgprValuC+13] // *= alpha ( Cr += -Ai * Ci )
v_mul_f32 v[vgprValuC+13], s[sgprAlpha], v[vgprValuC+13] // *= alpha ( Ci = Ar * Ci)
_v_mac_f32 v[vgprValuC+13], s[sgprAlpha+1], v16    // *= alpha ( Ci += Ai * Cr_backup )
	;; [unrolled: 5-line block ×3, first 2 shown]

/* apply mask, calc new C and issue writes */
_buffer_store_b64 v[8:9], v6, s[sgprSrdD:sgprSrdD+3], 0, offen, offset:1024,  nt // store D
s_lshl_b32  s56, s[sgprStrideD1J], 3               // incToNextRow: Scale by BPE
s_add_u32  s[sgprSrdD+0], s[sgprSrdD+0], s56       // incToNextRow: gra SRD += inc(lower)
s_addc_u32  s[sgprSrdD+1], s[sgprSrdD+1], 0        // incToNextRow: gra SRD += inc(upper)
_buffer_store_b64 v[10:11], v6, s[sgprSrdD:sgprSrdD+3], 0, offen, offset:0,  nt // store D
_buffer_store_b64 v[12:13], v6, s[sgprSrdD:sgprSrdD+3], 0, offen, offset:128,  nt // store D
	;; [unrolled: 1-line block ×3, first 2 shown]
s_nop 0                                            // 1 wait state required when next inst writes vgprs held by previous dwordx4 store inst
/* optSingleColVgpr=1 optSharedColVgpr=0 optSGPRUsage=BufferLoad_Mask optSrdIncForRow=1 */
s_sleep 3 // optimization: sync and wait
s_barrier

/******************************************/
/* Global Write Alpha Batch #12 (d1,d0,vc1,vc0) = */
/*    (1,3,1,0:vw1); (1,4,1,0:vw1); (1,5,1,0:vw1); (1,6,1,0:vw1) */
/******************************************/

/* calc coords, apply mask, and issue loads (if necessary) */
/* (d1,vc1,d0,vc0)=(1,1,3,0) */
/* (d1,vc1,d0,vc0)=(1,1,4,0) */
	;; [unrolled: 1-line block ×4, first 2 shown]
v_accvgpr_read_b32 v[vgprValuC+8], acc49 // copy acc to vreg[96]
v_accvgpr_read_b32 v[vgprValuC+9], acc121 // copy acc to vreg[97]
v_accvgpr_read_b32 v[vgprValuC+10], acc53 // copy acc to vreg[98]
v_accvgpr_read_b32 v[vgprValuC+11], acc125 // copy acc to vreg[99]
v_accvgpr_read_b32 v[vgprValuC+12], acc57 // copy acc to vreg[100]
v_accvgpr_read_b32 v[vgprValuC+13], acc129 // copy acc to vreg[101]
v_accvgpr_read_b32 v[vgprValuC+14], acc61 // copy acc to vreg[102]
v_accvgpr_read_b32 v[vgprValuC+15], acc133 // copy acc to vreg[103]
s_nop 1                                            // 2 wait states required before reading vgpr

/* rC *= alpha batchElements=[(1, 3, 1, 0), (1, 4, 1, 0), (1, 5, 1, 0), (1, 6, 1, 0)] */
v_mov_b32 v16, v[vgprValuC+8]                      // store Cr
v_mul_f32 v[vgprValuC+8], s[sgprAlpha], v[vgprValuC+8] // *= alpha ( Cr = Ar * Cr)
_v_mac_f32 v[vgprValuC+8], -s[sgprAlpha+1], v[vgprValuC+9] // *= alpha ( Cr += -Ai * Ci )
v_mul_f32 v[vgprValuC+9], s[sgprAlpha], v[vgprValuC+9] // *= alpha ( Ci = Ar * Ci)
_v_mac_f32 v[vgprValuC+9], s[sgprAlpha+1], v16     // *= alpha ( Ci += Ai * Cr_backup )
v_mov_b32 v16, v[vgprValuC+10]                     // store Cr
v_mul_f32 v[vgprValuC+10], s[sgprAlpha], v[vgprValuC+10] // *= alpha ( Cr = Ar * Cr)
_v_mac_f32 v[vgprValuC+10], -s[sgprAlpha+1], v[vgprValuC+11] // *= alpha ( Cr += -Ai * Ci )
v_mul_f32 v[vgprValuC+11], s[sgprAlpha], v[vgprValuC+11] // *= alpha ( Ci = Ar * Ci)
_v_mac_f32 v[vgprValuC+11], s[sgprAlpha+1], v16    // *= alpha ( Ci += Ai * Cr_backup )
v_mov_b32 v16, v[vgprValuC+12]                     // store Cr
v_mul_f32 v[vgprValuC+12], s[sgprAlpha], v[vgprValuC+12] // *= alpha ( Cr = Ar * Cr)
_v_mac_f32 v[vgprValuC+12], -s[sgprAlpha+1], v[vgprValuC+13] // *= alpha ( Cr += -Ai * Ci )
v_mul_f32 v[vgprValuC+13], s[sgprAlpha], v[vgprValuC+13] // *= alpha ( Ci = Ar * Ci)
_v_mac_f32 v[vgprValuC+13], s[sgprAlpha+1], v16    // *= alpha ( Ci += Ai * Cr_backup )
	;; [unrolled: 5-line block ×3, first 2 shown]

/* apply mask, calc new C and issue writes */
_buffer_store_b64 v[8:9], v6, s[sgprSrdD:sgprSrdD+3], 0, offen, offset:384,  nt // store D
_buffer_store_b64 v[10:11], v6, s[sgprSrdD:sgprSrdD+3], 0, offen, offset:512,  nt // store D
	;; [unrolled: 1-line block ×4, first 2 shown]
s_nop 0                                            // 1 wait state required when next inst writes vgprs held by previous dwordx4 store inst
/* optSingleColVgpr=1 optSharedColVgpr=0 optSGPRUsage=BufferLoad_Mask optSrdIncForRow=1 */
s_sleep 3 // optimization: sync and wait
s_barrier

/******************************************/
/* Global Write Alpha Batch #13 (d1,d0,vc1,vc0) = */
/*    (1,7,1,0:vw1); (1,8,1,0:vw1); (1,0,2,0:vw1); (1,1,2,0:vw1) */
/******************************************/

/* calc coords, apply mask, and issue loads (if necessary) */
/* (d1,vc1,d0,vc0)=(1,1,7,0) */
/* (d1,vc1,d0,vc0)=(1,1,8,0) */
	;; [unrolled: 1-line block ×4, first 2 shown]
v_accvgpr_read_b32 v[vgprValuC+8], acc65 // copy acc to vreg[104]
v_accvgpr_read_b32 v[vgprValuC+9], acc137 // copy acc to vreg[105]
v_accvgpr_read_b32 v[vgprValuC+10], acc69 // copy acc to vreg[106]
v_accvgpr_read_b32 v[vgprValuC+11], acc141 // copy acc to vreg[107]
v_accvgpr_read_b32 v[vgprValuC+12], acc38 // copy acc to vreg[108]
v_accvgpr_read_b32 v[vgprValuC+13], acc110 // copy acc to vreg[109]
v_accvgpr_read_b32 v[vgprValuC+14], acc42 // copy acc to vreg[110]
v_accvgpr_read_b32 v[vgprValuC+15], acc114 // copy acc to vreg[111]
s_nop 1                                            // 2 wait states required before reading vgpr

/* rC *= alpha batchElements=[(1, 7, 1, 0), (1, 8, 1, 0), (1, 0, 2, 0), (1, 1, 2, 0)] */
v_mov_b32 v16, v[vgprValuC+8]                      // store Cr
v_mul_f32 v[vgprValuC+8], s[sgprAlpha], v[vgprValuC+8] // *= alpha ( Cr = Ar * Cr)
_v_mac_f32 v[vgprValuC+8], -s[sgprAlpha+1], v[vgprValuC+9] // *= alpha ( Cr += -Ai * Ci )
v_mul_f32 v[vgprValuC+9], s[sgprAlpha], v[vgprValuC+9] // *= alpha ( Ci = Ar * Ci)
_v_mac_f32 v[vgprValuC+9], s[sgprAlpha+1], v16     // *= alpha ( Ci += Ai * Cr_backup )
v_mov_b32 v16, v[vgprValuC+10]                     // store Cr
v_mul_f32 v[vgprValuC+10], s[sgprAlpha], v[vgprValuC+10] // *= alpha ( Cr = Ar * Cr)
_v_mac_f32 v[vgprValuC+10], -s[sgprAlpha+1], v[vgprValuC+11] // *= alpha ( Cr += -Ai * Ci )
v_mul_f32 v[vgprValuC+11], s[sgprAlpha], v[vgprValuC+11] // *= alpha ( Ci = Ar * Ci)
_v_mac_f32 v[vgprValuC+11], s[sgprAlpha+1], v16    // *= alpha ( Ci += Ai * Cr_backup )
v_mov_b32 v16, v[vgprValuC+12]                     // store Cr
v_mul_f32 v[vgprValuC+12], s[sgprAlpha], v[vgprValuC+12] // *= alpha ( Cr = Ar * Cr)
_v_mac_f32 v[vgprValuC+12], -s[sgprAlpha+1], v[vgprValuC+13] // *= alpha ( Cr += -Ai * Ci )
v_mul_f32 v[vgprValuC+13], s[sgprAlpha], v[vgprValuC+13] // *= alpha ( Ci = Ar * Ci)
_v_mac_f32 v[vgprValuC+13], s[sgprAlpha+1], v16    // *= alpha ( Ci += Ai * Cr_backup )
	;; [unrolled: 5-line block ×3, first 2 shown]

/* apply mask, calc new C and issue writes */
_buffer_store_b64 v[8:9], v6, s[sgprSrdD:sgprSrdD+3], 0, offen, offset:896,  nt // store D
_buffer_store_b64 v[10:11], v6, s[sgprSrdD:sgprSrdD+3], 0, offen, offset:1024,  nt // store D
s_lshl_b32  s56, s[sgprStrideD1J], 3               // incToNextRow: Scale by BPE
s_add_u32  s[sgprSrdD+0], s[sgprSrdD+0], s56       // incToNextRow: gra SRD += inc(lower)
s_addc_u32  s[sgprSrdD+1], s[sgprSrdD+1], 0        // incToNextRow: gra SRD += inc(upper)
_buffer_store_b64 v[12:13], v6, s[sgprSrdD:sgprSrdD+3], 0, offen, offset:0,  nt // store D
_buffer_store_b64 v[14:15], v6, s[sgprSrdD:sgprSrdD+3], 0, offen, offset:128,  nt // store D
s_nop 0                                            // 1 wait state required when next inst writes vgprs held by previous dwordx4 store inst
/* optSingleColVgpr=1 optSharedColVgpr=0 optSGPRUsage=BufferLoad_Mask optSrdIncForRow=1 */
s_sleep 3 // optimization: sync and wait
s_barrier

/******************************************/
/* Global Write Alpha Batch #14 (d1,d0,vc1,vc0) = */
/*    (1,2,2,0:vw1); (1,3,2,0:vw1); (1,4,2,0:vw1); (1,5,2,0:vw1) */
/******************************************/

/* calc coords, apply mask, and issue loads (if necessary) */
/* (d1,vc1,d0,vc0)=(1,2,2,0) */
/* (d1,vc1,d0,vc0)=(1,2,3,0) */
	;; [unrolled: 1-line block ×4, first 2 shown]
v_accvgpr_read_b32 v[vgprValuC+8], acc46 // copy acc to vreg[112]
v_accvgpr_read_b32 v[vgprValuC+9], acc118 // copy acc to vreg[113]
v_accvgpr_read_b32 v[vgprValuC+10], acc50 // copy acc to vreg[114]
v_accvgpr_read_b32 v[vgprValuC+11], acc122 // copy acc to vreg[115]
v_accvgpr_read_b32 v[vgprValuC+12], acc54 // copy acc to vreg[116]
v_accvgpr_read_b32 v[vgprValuC+13], acc126 // copy acc to vreg[117]
v_accvgpr_read_b32 v[vgprValuC+14], acc58 // copy acc to vreg[118]
v_accvgpr_read_b32 v[vgprValuC+15], acc130 // copy acc to vreg[119]
s_nop 1                                            // 2 wait states required before reading vgpr

/* rC *= alpha batchElements=[(1, 2, 2, 0), (1, 3, 2, 0), (1, 4, 2, 0), (1, 5, 2, 0)] */
v_mov_b32 v16, v[vgprValuC+8]                      // store Cr
v_mul_f32 v[vgprValuC+8], s[sgprAlpha], v[vgprValuC+8] // *= alpha ( Cr = Ar * Cr)
_v_mac_f32 v[vgprValuC+8], -s[sgprAlpha+1], v[vgprValuC+9] // *= alpha ( Cr += -Ai * Ci )
v_mul_f32 v[vgprValuC+9], s[sgprAlpha], v[vgprValuC+9] // *= alpha ( Ci = Ar * Ci)
_v_mac_f32 v[vgprValuC+9], s[sgprAlpha+1], v16     // *= alpha ( Ci += Ai * Cr_backup )
v_mov_b32 v16, v[vgprValuC+10]                     // store Cr
v_mul_f32 v[vgprValuC+10], s[sgprAlpha], v[vgprValuC+10] // *= alpha ( Cr = Ar * Cr)
_v_mac_f32 v[vgprValuC+10], -s[sgprAlpha+1], v[vgprValuC+11] // *= alpha ( Cr += -Ai * Ci )
v_mul_f32 v[vgprValuC+11], s[sgprAlpha], v[vgprValuC+11] // *= alpha ( Ci = Ar * Ci)
_v_mac_f32 v[vgprValuC+11], s[sgprAlpha+1], v16    // *= alpha ( Ci += Ai * Cr_backup )
v_mov_b32 v16, v[vgprValuC+12]                     // store Cr
v_mul_f32 v[vgprValuC+12], s[sgprAlpha], v[vgprValuC+12] // *= alpha ( Cr = Ar * Cr)
_v_mac_f32 v[vgprValuC+12], -s[sgprAlpha+1], v[vgprValuC+13] // *= alpha ( Cr += -Ai * Ci )
v_mul_f32 v[vgprValuC+13], s[sgprAlpha], v[vgprValuC+13] // *= alpha ( Ci = Ar * Ci)
_v_mac_f32 v[vgprValuC+13], s[sgprAlpha+1], v16    // *= alpha ( Ci += Ai * Cr_backup )
	;; [unrolled: 5-line block ×3, first 2 shown]

/* apply mask, calc new C and issue writes */
_buffer_store_b64 v[8:9], v6, s[sgprSrdD:sgprSrdD+3], 0, offen, offset:256,  nt // store D
_buffer_store_b64 v[10:11], v6, s[sgprSrdD:sgprSrdD+3], 0, offen, offset:384,  nt // store D
_buffer_store_b64 v[12:13], v6, s[sgprSrdD:sgprSrdD+3], 0, offen, offset:512,  nt // store D
_buffer_store_b64 v[14:15], v6, s[sgprSrdD:sgprSrdD+3], 0, offen, offset:640,  nt // store D
s_nop 0                                            // 1 wait state required when next inst writes vgprs held by previous dwordx4 store inst
/* optSingleColVgpr=1 optSharedColVgpr=0 optSGPRUsage=BufferLoad_Mask optSrdIncForRow=1 */
s_sleep 3 // optimization: sync and wait
s_barrier

/******************************************/
/* Global Write Alpha Batch #15 (d1,d0,vc1,vc0) = */
/*    (1,6,2,0:vw1); (1,7,2,0:vw1); (1,8,2,0:vw1); (1,0,3,0:vw1) */
/******************************************/

/* calc coords, apply mask, and issue loads (if necessary) */
/* (d1,vc1,d0,vc0)=(1,2,6,0) */
/* (d1,vc1,d0,vc0)=(1,2,7,0) */
	;; [unrolled: 1-line block ×4, first 2 shown]
v_accvgpr_read_b32 v[vgprValuC+8], acc62 // copy acc to vreg[120]
v_accvgpr_read_b32 v[vgprValuC+9], acc134 // copy acc to vreg[121]
v_accvgpr_read_b32 v[vgprValuC+10], acc66 // copy acc to vreg[122]
v_accvgpr_read_b32 v[vgprValuC+11], acc138 // copy acc to vreg[123]
v_accvgpr_read_b32 v[vgprValuC+12], acc70 // copy acc to vreg[124]
v_accvgpr_read_b32 v[vgprValuC+13], acc142 // copy acc to vreg[125]
v_accvgpr_read_b32 v[vgprValuC+14], acc39 // copy acc to vreg[126]
v_accvgpr_read_b32 v[vgprValuC+15], acc111 // copy acc to vreg[127]
s_nop 1                                            // 2 wait states required before reading vgpr

/* rC *= alpha batchElements=[(1, 6, 2, 0), (1, 7, 2, 0), (1, 8, 2, 0), (1, 0, 3, 0)] */
v_mov_b32 v16, v[vgprValuC+8]                      // store Cr
v_mul_f32 v[vgprValuC+8], s[sgprAlpha], v[vgprValuC+8] // *= alpha ( Cr = Ar * Cr)
_v_mac_f32 v[vgprValuC+8], -s[sgprAlpha+1], v[vgprValuC+9] // *= alpha ( Cr += -Ai * Ci )
v_mul_f32 v[vgprValuC+9], s[sgprAlpha], v[vgprValuC+9] // *= alpha ( Ci = Ar * Ci)
_v_mac_f32 v[vgprValuC+9], s[sgprAlpha+1], v16     // *= alpha ( Ci += Ai * Cr_backup )
v_mov_b32 v16, v[vgprValuC+10]                     // store Cr
v_mul_f32 v[vgprValuC+10], s[sgprAlpha], v[vgprValuC+10] // *= alpha ( Cr = Ar * Cr)
_v_mac_f32 v[vgprValuC+10], -s[sgprAlpha+1], v[vgprValuC+11] // *= alpha ( Cr += -Ai * Ci )
v_mul_f32 v[vgprValuC+11], s[sgprAlpha], v[vgprValuC+11] // *= alpha ( Ci = Ar * Ci)
_v_mac_f32 v[vgprValuC+11], s[sgprAlpha+1], v16    // *= alpha ( Ci += Ai * Cr_backup )
v_mov_b32 v16, v[vgprValuC+12]                     // store Cr
v_mul_f32 v[vgprValuC+12], s[sgprAlpha], v[vgprValuC+12] // *= alpha ( Cr = Ar * Cr)
_v_mac_f32 v[vgprValuC+12], -s[sgprAlpha+1], v[vgprValuC+13] // *= alpha ( Cr += -Ai * Ci )
v_mul_f32 v[vgprValuC+13], s[sgprAlpha], v[vgprValuC+13] // *= alpha ( Ci = Ar * Ci)
_v_mac_f32 v[vgprValuC+13], s[sgprAlpha+1], v16    // *= alpha ( Ci += Ai * Cr_backup )
	;; [unrolled: 5-line block ×3, first 2 shown]

/* apply mask, calc new C and issue writes */
_buffer_store_b64 v[8:9], v6, s[sgprSrdD:sgprSrdD+3], 0, offen, offset:768,  nt // store D
_buffer_store_b64 v[10:11], v6, s[sgprSrdD:sgprSrdD+3], 0, offen, offset:896,  nt // store D
	;; [unrolled: 1-line block ×3, first 2 shown]
s_lshl_b32  s56, s[sgprStrideD1J], 3               // incToNextRow: Scale by BPE
s_add_u32  s[sgprSrdD+0], s[sgprSrdD+0], s56       // incToNextRow: gra SRD += inc(lower)
s_addc_u32  s[sgprSrdD+1], s[sgprSrdD+1], 0        // incToNextRow: gra SRD += inc(upper)
_buffer_store_b64 v[14:15], v6, s[sgprSrdD:sgprSrdD+3], 0, offen, offset:0,  nt // store D
s_nop 0                                            // 1 wait state required when next inst writes vgprs held by previous dwordx4 store inst
/* optSingleColVgpr=1 optSharedColVgpr=0 optSGPRUsage=BufferLoad_Mask optSrdIncForRow=1 */
s_sleep 3 // optimization: sync and wait
s_barrier

/******************************************/
/* Global Write Alpha Batch #16 (d1,d0,vc1,vc0) = */
/*    (1,1,3,0:vw1); (1,2,3,0:vw1); (1,3,3,0:vw1); (1,4,3,0:vw1) */
/******************************************/

/* calc coords, apply mask, and issue loads (if necessary) */
/* (d1,vc1,d0,vc0)=(1,3,1,0) */
/* (d1,vc1,d0,vc0)=(1,3,2,0) */
	;; [unrolled: 1-line block ×4, first 2 shown]
v_accvgpr_read_b32 v[vgprValuC+8], acc43 // copy acc to vreg[128]
v_accvgpr_read_b32 v[vgprValuC+9], acc115 // copy acc to vreg[129]
v_accvgpr_read_b32 v[vgprValuC+10], acc47 // copy acc to vreg[130]
v_accvgpr_read_b32 v[vgprValuC+11], acc119 // copy acc to vreg[131]
v_accvgpr_read_b32 v[vgprValuC+12], acc51 // copy acc to vreg[132]
v_accvgpr_read_b32 v[vgprValuC+13], acc123 // copy acc to vreg[133]
v_accvgpr_read_b32 v[vgprValuC+14], acc55 // copy acc to vreg[134]
v_accvgpr_read_b32 v[vgprValuC+15], acc127 // copy acc to vreg[135]
s_nop 1                                            // 2 wait states required before reading vgpr

/* rC *= alpha batchElements=[(1, 1, 3, 0), (1, 2, 3, 0), (1, 3, 3, 0), (1, 4, 3, 0)] */
v_mov_b32 v16, v[vgprValuC+8]                      // store Cr
v_mul_f32 v[vgprValuC+8], s[sgprAlpha], v[vgprValuC+8] // *= alpha ( Cr = Ar * Cr)
_v_mac_f32 v[vgprValuC+8], -s[sgprAlpha+1], v[vgprValuC+9] // *= alpha ( Cr += -Ai * Ci )
v_mul_f32 v[vgprValuC+9], s[sgprAlpha], v[vgprValuC+9] // *= alpha ( Ci = Ar * Ci)
_v_mac_f32 v[vgprValuC+9], s[sgprAlpha+1], v16     // *= alpha ( Ci += Ai * Cr_backup )
v_mov_b32 v16, v[vgprValuC+10]                     // store Cr
v_mul_f32 v[vgprValuC+10], s[sgprAlpha], v[vgprValuC+10] // *= alpha ( Cr = Ar * Cr)
_v_mac_f32 v[vgprValuC+10], -s[sgprAlpha+1], v[vgprValuC+11] // *= alpha ( Cr += -Ai * Ci )
v_mul_f32 v[vgprValuC+11], s[sgprAlpha], v[vgprValuC+11] // *= alpha ( Ci = Ar * Ci)
_v_mac_f32 v[vgprValuC+11], s[sgprAlpha+1], v16    // *= alpha ( Ci += Ai * Cr_backup )
v_mov_b32 v16, v[vgprValuC+12]                     // store Cr
v_mul_f32 v[vgprValuC+12], s[sgprAlpha], v[vgprValuC+12] // *= alpha ( Cr = Ar * Cr)
_v_mac_f32 v[vgprValuC+12], -s[sgprAlpha+1], v[vgprValuC+13] // *= alpha ( Cr += -Ai * Ci )
v_mul_f32 v[vgprValuC+13], s[sgprAlpha], v[vgprValuC+13] // *= alpha ( Ci = Ar * Ci)
_v_mac_f32 v[vgprValuC+13], s[sgprAlpha+1], v16    // *= alpha ( Ci += Ai * Cr_backup )
	;; [unrolled: 5-line block ×3, first 2 shown]

/* apply mask, calc new C and issue writes */
_buffer_store_b64 v[8:9], v6, s[sgprSrdD:sgprSrdD+3], 0, offen, offset:128,  nt // store D
_buffer_store_b64 v[10:11], v6, s[sgprSrdD:sgprSrdD+3], 0, offen, offset:256,  nt // store D
	;; [unrolled: 1-line block ×4, first 2 shown]
s_nop 0                                            // 1 wait state required when next inst writes vgprs held by previous dwordx4 store inst
/* optSingleColVgpr=1 optSharedColVgpr=0 optSGPRUsage=BufferLoad_Mask optSrdIncForRow=1 */
s_sleep 3 // optimization: sync and wait
s_barrier

/******************************************/
/* Global Write Alpha Batch #17 (d1,d0,vc1,vc0) = */
/*    (1,5,3,0:vw1); (1,6,3,0:vw1); (1,7,3,0:vw1); (1,8,3,0:vw1) */
/******************************************/

/* calc coords, apply mask, and issue loads (if necessary) */
/* (d1,vc1,d0,vc0)=(1,3,5,0) */
/* (d1,vc1,d0,vc0)=(1,3,6,0) */
	;; [unrolled: 1-line block ×4, first 2 shown]
v_accvgpr_read_b32 v[vgprValuC+8], acc59 // copy acc to vreg[136]
v_accvgpr_read_b32 v[vgprValuC+9], acc131 // copy acc to vreg[137]
v_accvgpr_read_b32 v[vgprValuC+10], acc63 // copy acc to vreg[138]
v_accvgpr_read_b32 v[vgprValuC+11], acc135 // copy acc to vreg[139]
v_accvgpr_read_b32 v[vgprValuC+12], acc67 // copy acc to vreg[140]
v_accvgpr_read_b32 v[vgprValuC+13], acc139 // copy acc to vreg[141]
v_accvgpr_read_b32 v[vgprValuC+14], acc71 // copy acc to vreg[142]
v_accvgpr_read_b32 v[vgprValuC+15], acc143 // copy acc to vreg[143]
s_nop 1                                            // 2 wait states required before reading vgpr

/* rC *= alpha batchElements=[(1, 5, 3, 0), (1, 6, 3, 0), (1, 7, 3, 0), (1, 8, 3, 0)] */
v_mov_b32 v16, v[vgprValuC+8]                      // store Cr
v_mul_f32 v[vgprValuC+8], s[sgprAlpha], v[vgprValuC+8] // *= alpha ( Cr = Ar * Cr)
_v_mac_f32 v[vgprValuC+8], -s[sgprAlpha+1], v[vgprValuC+9] // *= alpha ( Cr += -Ai * Ci )
v_mul_f32 v[vgprValuC+9], s[sgprAlpha], v[vgprValuC+9] // *= alpha ( Ci = Ar * Ci)
_v_mac_f32 v[vgprValuC+9], s[sgprAlpha+1], v16     // *= alpha ( Ci += Ai * Cr_backup )
v_mov_b32 v16, v[vgprValuC+10]                     // store Cr
v_mul_f32 v[vgprValuC+10], s[sgprAlpha], v[vgprValuC+10] // *= alpha ( Cr = Ar * Cr)
_v_mac_f32 v[vgprValuC+10], -s[sgprAlpha+1], v[vgprValuC+11] // *= alpha ( Cr += -Ai * Ci )
v_mul_f32 v[vgprValuC+11], s[sgprAlpha], v[vgprValuC+11] // *= alpha ( Ci = Ar * Ci)
_v_mac_f32 v[vgprValuC+11], s[sgprAlpha+1], v16    // *= alpha ( Ci += Ai * Cr_backup )
v_mov_b32 v16, v[vgprValuC+12]                     // store Cr
v_mul_f32 v[vgprValuC+12], s[sgprAlpha], v[vgprValuC+12] // *= alpha ( Cr = Ar * Cr)
_v_mac_f32 v[vgprValuC+12], -s[sgprAlpha+1], v[vgprValuC+13] // *= alpha ( Cr += -Ai * Ci )
v_mul_f32 v[vgprValuC+13], s[sgprAlpha], v[vgprValuC+13] // *= alpha ( Ci = Ar * Ci)
_v_mac_f32 v[vgprValuC+13], s[sgprAlpha+1], v16    // *= alpha ( Ci += Ai * Cr_backup )
	;; [unrolled: 5-line block ×3, first 2 shown]

/* apply mask, calc new C and issue writes */
_buffer_store_b64 v[8:9], v6, s[sgprSrdD:sgprSrdD+3], 0, offen, offset:640,  nt // store D
_buffer_store_b64 v[10:11], v6, s[sgprSrdD:sgprSrdD+3], 0, offen, offset:768,  nt // store D
	;; [unrolled: 1-line block ×4, first 2 shown]
s_nop 0                                            // 1 wait state required when next inst writes vgprs held by previous dwordx4 store inst
s_branch label_GW_End_44                           // jump to end
GW_B0_E1_36:

/* edge=1, allocate 6 sgpr. perBatchTmpS=4 perBatchMaskS=2 perElementMaskS=0 elementsPerBatch=4 */
/* optSingleColVgpr=0 optSharedColVgpr=0 optSGPRUsage=BufferLoad_Edge_Mask optSrdIncForRow=0 */
s_sleep 3 // optimization: sync and wait
s_barrier

/******************************************/
/* Global Write Alpha Edge Batch #0 (d1,d0,vc1,vc0) = */
/*    (0,0,0,0:vw1); (0,1,0,0:vw1); (0,2,0,0:vw1); (0,3,0,0:vw1) */
/******************************************/

/* calc coords, apply mask, and issue loads (if necessary) */
/* (d1,vc1,d0,vc0)=(0,0,0,0) */
v_cmp_lt_u32 s[56:57], v0, s[sgprSizeI]            // coord0 < size0
v_cmp_lt_u32 s[60:61], v1, s[sgprSizeJ]            // coord1 < size1
s_and_b64 s[60:61], s[56:57], s[60:61]             // in0 && in1
_v_add_lshl_u32 v6, v3, v0, 0x3                    // scaleToBpe: accumulate d0 lower and *= bpe into Cin addr
v_cndmask_b32 v6, -1, v6, s[60:61]                 // LDD clip if OOB. offset
/* (d1,vc1,d0,vc0)=(0,0,1,0) */
_v_add_co_u32 v4, vcc, v0, 16                      // coord0.1: coord0 += d0*sg0*VW + vc0
v_cmp_lt_u32 s[56:57], v4, s[sgprSizeI]            // coord0 < size0
v_cmp_lt_u32 s[60:61], v1, s[sgprSizeJ]            // coord1 < size1
s_and_b64 s[60:61], s[56:57], s[60:61]             // in0 && in1
_v_add_lshl_u32 v7, v3, v4, 0x3                    // scaleToBpe: accumulate d0 lower and *= bpe into Cin addr
v_cndmask_b32 v7, -1, v7, s[60:61]                 // LDD clip if OOB. offset
/* (d1,vc1,d0,vc0)=(0,0,2,0) */
_v_add_co_u32 v4, vcc, v0, 32                      // coord0.1: coord0 += d0*sg0*VW + vc0
v_cmp_lt_u32 s[56:57], v4, s[sgprSizeI]            // coord0 < size0
v_cmp_lt_u32 s[60:61], v1, s[sgprSizeJ]            // coord1 < size1
s_and_b64 s[60:61], s[56:57], s[60:61]             // in0 && in1
_v_add_lshl_u32 v12, v3, v4, 0x3                   // scaleToBpe: accumulate d0 lower and *= bpe into Cin addr
v_cndmask_b32 v12, -1, v12, s[60:61]               // LDD clip if OOB. offset
/* (d1,vc1,d0,vc0)=(0,0,3,0) */
_v_add_co_u32 v4, vcc, v0, 48                      // coord0.1: coord0 += d0*sg0*VW + vc0
v_cmp_lt_u32 s[56:57], v4, s[sgprSizeI]            // coord0 < size0
v_cmp_lt_u32 s[60:61], v1, s[sgprSizeJ]            // coord1 < size1
s_and_b64 s[60:61], s[56:57], s[60:61]             // in0 && in1
_v_add_lshl_u32 v13, v3, v4, 0x3                   // scaleToBpe: accumulate d0 lower and *= bpe into Cin addr
v_cndmask_b32 v13, -1, v13, s[60:61]               // LDD clip if OOB. offset
v_accvgpr_read_b32 v[vgprValuC+8], acc0 // copy acc to vreg[0]
v_accvgpr_read_b32 v[vgprValuC+9], acc72 // copy acc to vreg[1]
v_accvgpr_read_b32 v[vgprValuC+10], acc4 // copy acc to vreg[2]
v_accvgpr_read_b32 v[vgprValuC+11], acc76 // copy acc to vreg[3]
v_accvgpr_read_b32 v[vgprValuC+14], acc8 // copy acc to vreg[4]
v_accvgpr_read_b32 v[vgprValuC+15], acc80 // copy acc to vreg[5]
v_accvgpr_read_b32 v[vgprValuC+16], acc12 // copy acc to vreg[6]
v_accvgpr_read_b32 v[vgprValuC+17], acc84 // copy acc to vreg[7]
s_nop 1                                            // 2 wait states required before reading vgpr

/* rC *= alpha batchElements=[(0, 0, 0, 0), (0, 1, 0, 0), (0, 2, 0, 0), (0, 3, 0, 0)] */
v_mov_b32 v18, v[vgprValuC+8]                      // store Cr
v_mul_f32 v[vgprValuC+8], s[sgprAlpha], v[vgprValuC+8] // *= alpha ( Cr = Ar * Cr)
_v_mac_f32 v[vgprValuC+8], -s[sgprAlpha+1], v[vgprValuC+9] // *= alpha ( Cr += -Ai * Ci )
v_mul_f32 v[vgprValuC+9], s[sgprAlpha], v[vgprValuC+9] // *= alpha ( Ci = Ar * Ci)
_v_mac_f32 v[vgprValuC+9], s[sgprAlpha+1], v18     // *= alpha ( Ci += Ai * Cr_backup )
v_mov_b32 v18, v[vgprValuC+10]                     // store Cr
v_mul_f32 v[vgprValuC+10], s[sgprAlpha], v[vgprValuC+10] // *= alpha ( Cr = Ar * Cr)
_v_mac_f32 v[vgprValuC+10], -s[sgprAlpha+1], v[vgprValuC+11] // *= alpha ( Cr += -Ai * Ci )
v_mul_f32 v[vgprValuC+11], s[sgprAlpha], v[vgprValuC+11] // *= alpha ( Ci = Ar * Ci)
_v_mac_f32 v[vgprValuC+11], s[sgprAlpha+1], v18    // *= alpha ( Ci += Ai * Cr_backup )
v_mov_b32 v18, v[vgprValuC+14]                     // store Cr
v_mul_f32 v[vgprValuC+14], s[sgprAlpha], v[vgprValuC+14] // *= alpha ( Cr = Ar * Cr)
_v_mac_f32 v[vgprValuC+14], -s[sgprAlpha+1], v[vgprValuC+15] // *= alpha ( Cr += -Ai * Ci )
v_mul_f32 v[vgprValuC+15], s[sgprAlpha], v[vgprValuC+15] // *= alpha ( Ci = Ar * Ci)
_v_mac_f32 v[vgprValuC+15], s[sgprAlpha+1], v18    // *= alpha ( Ci += Ai * Cr_backup )
v_mov_b32 v18, v[vgprValuC+16]                     // store Cr
v_mul_f32 v[vgprValuC+16], s[sgprAlpha], v[vgprValuC+16] // *= alpha ( Cr = Ar * Cr)
_v_mac_f32 v[vgprValuC+16], -s[sgprAlpha+1], v[vgprValuC+17] // *= alpha ( Cr += -Ai * Ci )
v_mul_f32 v[vgprValuC+17], s[sgprAlpha], v[vgprValuC+17] // *= alpha ( Ci = Ar * Ci)
_v_mac_f32 v[vgprValuC+17], s[sgprAlpha+1], v18    // *= alpha ( Ci += Ai * Cr_backup )

/* apply mask, calc new C and issue writes */
_buffer_store_b64 v[8:9], v6, s[sgprSrdD:sgprSrdD+3], 0, offen, offset:0,  nt // store D
_buffer_store_b64 v[10:11], v7, s[sgprSrdD:sgprSrdD+3], 0, offen, offset:0,  nt // store D
	;; [unrolled: 1-line block ×4, first 2 shown]
s_nop 0                                            // 1 wait state required when next inst writes vgprs held by previous dwordx4 store inst
/* optSingleColVgpr=0 optSharedColVgpr=0 optSGPRUsage=BufferLoad_Edge_Mask optSrdIncForRow=0 */
s_sleep 3 // optimization: sync and wait
s_barrier

/******************************************/
/* Global Write Alpha Edge Batch #1 (d1,d0,vc1,vc0) = */
/*    (0,4,0,0:vw1); (0,5,0,0:vw1); (0,6,0,0:vw1); (0,7,0,0:vw1) */
/******************************************/

/* calc coords, apply mask, and issue loads (if necessary) */
/* (d1,vc1,d0,vc0)=(0,0,4,0) */
_v_add_co_u32 v4, vcc, v0, 64                      // coord0.1: coord0 += d0*sg0*VW + vc0
v_cmp_lt_u32 s[56:57], v4, s[sgprSizeI]            // coord0 < size0
v_cmp_lt_u32 s[60:61], v1, s[sgprSizeJ]            // coord1 < size1
s_and_b64 s[60:61], s[56:57], s[60:61]             // in0 && in1
_v_add_lshl_u32 v6, v3, v4, 0x3                    // scaleToBpe: accumulate d0 lower and *= bpe into Cin addr
v_cndmask_b32 v6, -1, v6, s[60:61]                 // LDD clip if OOB. offset
/* (d1,vc1,d0,vc0)=(0,0,5,0) */
s_mov_b32 s56, 80                                  // coordOffset0 d0=5 vc0=0
_v_add_co_u32 v4, vcc, v0, s56                     // coord0.2: coord0 += d0*sg0*VW + vc0
v_cmp_lt_u32 s[56:57], v4, s[sgprSizeI]            // coord0 < size0
v_cmp_lt_u32 s[60:61], v1, s[sgprSizeJ]            // coord1 < size1
s_and_b64 s[60:61], s[56:57], s[60:61]             // in0 && in1
_v_add_lshl_u32 v7, v3, v4, 0x3                    // scaleToBpe: accumulate d0 lower and *= bpe into Cin addr
v_cndmask_b32 v7, -1, v7, s[60:61]                 // LDD clip if OOB. offset
/* (d1,vc1,d0,vc0)=(0,0,6,0) */
s_mov_b32 s56, 96                                  // coordOffset0 d0=6 vc0=0
_v_add_co_u32 v4, vcc, v0, s56                     // coord0.2: coord0 += d0*sg0*VW + vc0
v_cmp_lt_u32 s[56:57], v4, s[sgprSizeI]            // coord0 < size0
v_cmp_lt_u32 s[60:61], v1, s[sgprSizeJ]            // coord1 < size1
s_and_b64 s[60:61], s[56:57], s[60:61]             // in0 && in1
_v_add_lshl_u32 v12, v3, v4, 0x3                   // scaleToBpe: accumulate d0 lower and *= bpe into Cin addr
v_cndmask_b32 v12, -1, v12, s[60:61]               // LDD clip if OOB. offset
/* (d1,vc1,d0,vc0)=(0,0,7,0) */
s_mov_b32 s56, 112                                 // coordOffset0 d0=7 vc0=0
_v_add_co_u32 v4, vcc, v0, s56                     // coord0.2: coord0 += d0*sg0*VW + vc0
v_cmp_lt_u32 s[56:57], v4, s[sgprSizeI]            // coord0 < size0
v_cmp_lt_u32 s[60:61], v1, s[sgprSizeJ]            // coord1 < size1
s_and_b64 s[60:61], s[56:57], s[60:61]             // in0 && in1
_v_add_lshl_u32 v13, v3, v4, 0x3                   // scaleToBpe: accumulate d0 lower and *= bpe into Cin addr
v_cndmask_b32 v13, -1, v13, s[60:61]               // LDD clip if OOB. offset
v_accvgpr_read_b32 v[vgprValuC+8], acc16 // copy acc to vreg[8]
v_accvgpr_read_b32 v[vgprValuC+9], acc88 // copy acc to vreg[9]
v_accvgpr_read_b32 v[vgprValuC+10], acc20 // copy acc to vreg[10]
v_accvgpr_read_b32 v[vgprValuC+11], acc92 // copy acc to vreg[11]
v_accvgpr_read_b32 v[vgprValuC+14], acc24 // copy acc to vreg[12]
v_accvgpr_read_b32 v[vgprValuC+15], acc96 // copy acc to vreg[13]
v_accvgpr_read_b32 v[vgprValuC+16], acc28 // copy acc to vreg[14]
v_accvgpr_read_b32 v[vgprValuC+17], acc100 // copy acc to vreg[15]
s_nop 1                                            // 2 wait states required before reading vgpr

/* rC *= alpha batchElements=[(0, 4, 0, 0), (0, 5, 0, 0), (0, 6, 0, 0), (0, 7, 0, 0)] */
v_mov_b32 v18, v[vgprValuC+8]                      // store Cr
v_mul_f32 v[vgprValuC+8], s[sgprAlpha], v[vgprValuC+8] // *= alpha ( Cr = Ar * Cr)
_v_mac_f32 v[vgprValuC+8], -s[sgprAlpha+1], v[vgprValuC+9] // *= alpha ( Cr += -Ai * Ci )
v_mul_f32 v[vgprValuC+9], s[sgprAlpha], v[vgprValuC+9] // *= alpha ( Ci = Ar * Ci)
_v_mac_f32 v[vgprValuC+9], s[sgprAlpha+1], v18     // *= alpha ( Ci += Ai * Cr_backup )
v_mov_b32 v18, v[vgprValuC+10]                     // store Cr
v_mul_f32 v[vgprValuC+10], s[sgprAlpha], v[vgprValuC+10] // *= alpha ( Cr = Ar * Cr)
_v_mac_f32 v[vgprValuC+10], -s[sgprAlpha+1], v[vgprValuC+11] // *= alpha ( Cr += -Ai * Ci )
v_mul_f32 v[vgprValuC+11], s[sgprAlpha], v[vgprValuC+11] // *= alpha ( Ci = Ar * Ci)
_v_mac_f32 v[vgprValuC+11], s[sgprAlpha+1], v18    // *= alpha ( Ci += Ai * Cr_backup )
v_mov_b32 v18, v[vgprValuC+14]                     // store Cr
v_mul_f32 v[vgprValuC+14], s[sgprAlpha], v[vgprValuC+14] // *= alpha ( Cr = Ar * Cr)
_v_mac_f32 v[vgprValuC+14], -s[sgprAlpha+1], v[vgprValuC+15] // *= alpha ( Cr += -Ai * Ci )
v_mul_f32 v[vgprValuC+15], s[sgprAlpha], v[vgprValuC+15] // *= alpha ( Ci = Ar * Ci)
_v_mac_f32 v[vgprValuC+15], s[sgprAlpha+1], v18    // *= alpha ( Ci += Ai * Cr_backup )
	;; [unrolled: 5-line block ×3, first 2 shown]

/* apply mask, calc new C and issue writes */
_buffer_store_b64 v[8:9], v6, s[sgprSrdD:sgprSrdD+3], 0, offen, offset:0,  nt // store D
_buffer_store_b64 v[10:11], v7, s[sgprSrdD:sgprSrdD+3], 0, offen, offset:0,  nt // store D
	;; [unrolled: 1-line block ×4, first 2 shown]
s_nop 0                                            // 1 wait state required when next inst writes vgprs held by previous dwordx4 store inst
/* optSingleColVgpr=0 optSharedColVgpr=0 optSGPRUsage=BufferLoad_Edge_Mask optSrdIncForRow=0 */
s_sleep 3 // optimization: sync and wait
s_barrier

/******************************************/
/* Global Write Alpha Edge Batch #2 (d1,d0,vc1,vc0) = */
/*    (0,8,0,0:vw1); (0,0,1,0:vw1); (0,1,1,0:vw1); (0,2,1,0:vw1) */
/******************************************/

/* calc coords, apply mask, and issue loads (if necessary) */
/* (d1,vc1,d0,vc0)=(0,0,8,0) */
s_mov_b32 s56, 128                                 // coordOffset0 d0=8 vc0=0
_v_add_co_u32 v4, vcc, v0, s56                     // coord0.2: coord0 += d0*sg0*VW + vc0
v_cmp_lt_u32 s[56:57], v4, s[sgprSizeI]            // coord0 < size0
v_cmp_lt_u32 s[60:61], v1, s[sgprSizeJ]            // coord1 < size1
s_and_b64 s[60:61], s[56:57], s[60:61]             // in0 && in1
_v_add_lshl_u32 v6, v3, v4, 0x3                    // scaleToBpe: accumulate d0 lower and *= bpe into Cin addr
v_cndmask_b32 v6, -1, v6, s[60:61]                 // LDD clip if OOB. offset
/* (d1,vc1,d0,vc0)=(0,1,0,0) */
_v_add_co_u32 v1, vcc, v1, 1                       // coord1.1: coord1Vgpr += d1*sg1*VW + vc1

/* Fix for UseInitialStridesCD, emitAddressSetupCode */
_v_add_u32 v2, v2, s[sgprStrideC1J]                // ROWINC- Move cinRowPtr to next row
_v_add_u32 v3, v3, s[sgprStrideD1J]                // Move coutRowPtr to next row
v_cmp_lt_u32 s[56:57], v0, s[sgprSizeI]            // coord0 < size0
v_cmp_lt_u32 s[60:61], v1, s[sgprSizeJ]            // coord1 < size1
s_and_b64 s[60:61], s[56:57], s[60:61]             // in0 && in1
_v_add_lshl_u32 v7, v3, v0, 0x3                    // scaleToBpe: accumulate d0 lower and *= bpe into Cin addr
v_cndmask_b32 v7, -1, v7, s[60:61]                 // LDD clip if OOB. offset
/* (d1,vc1,d0,vc0)=(0,1,1,0) */
_v_add_co_u32 v4, vcc, v0, 16                      // coord0.1: coord0 += d0*sg0*VW + vc0
v_cmp_lt_u32 s[56:57], v4, s[sgprSizeI]            // coord0 < size0
v_cmp_lt_u32 s[60:61], v1, s[sgprSizeJ]            // coord1 < size1
s_and_b64 s[60:61], s[56:57], s[60:61]             // in0 && in1
_v_add_lshl_u32 v12, v3, v4, 0x3                   // scaleToBpe: accumulate d0 lower and *= bpe into Cin addr
v_cndmask_b32 v12, -1, v12, s[60:61]               // LDD clip if OOB. offset
/* (d1,vc1,d0,vc0)=(0,1,2,0) */
_v_add_co_u32 v4, vcc, v0, 32                      // coord0.1: coord0 += d0*sg0*VW + vc0
v_cmp_lt_u32 s[56:57], v4, s[sgprSizeI]            // coord0 < size0
v_cmp_lt_u32 s[60:61], v1, s[sgprSizeJ]            // coord1 < size1
s_and_b64 s[60:61], s[56:57], s[60:61]             // in0 && in1
_v_add_lshl_u32 v13, v3, v4, 0x3                   // scaleToBpe: accumulate d0 lower and *= bpe into Cin addr
v_cndmask_b32 v13, -1, v13, s[60:61]               // LDD clip if OOB. offset
v_accvgpr_read_b32 v[vgprValuC+8], acc32 // copy acc to vreg[16]
v_accvgpr_read_b32 v[vgprValuC+9], acc104 // copy acc to vreg[17]
v_accvgpr_read_b32 v[vgprValuC+10], acc1 // copy acc to vreg[18]
v_accvgpr_read_b32 v[vgprValuC+11], acc73 // copy acc to vreg[19]
v_accvgpr_read_b32 v[vgprValuC+14], acc5 // copy acc to vreg[20]
v_accvgpr_read_b32 v[vgprValuC+15], acc77 // copy acc to vreg[21]
v_accvgpr_read_b32 v[vgprValuC+16], acc9 // copy acc to vreg[22]
v_accvgpr_read_b32 v[vgprValuC+17], acc81 // copy acc to vreg[23]
s_nop 1                                            // 2 wait states required before reading vgpr

/* rC *= alpha batchElements=[(0, 8, 0, 0), (0, 0, 1, 0), (0, 1, 1, 0), (0, 2, 1, 0)] */
v_mov_b32 v18, v[vgprValuC+8]                      // store Cr
v_mul_f32 v[vgprValuC+8], s[sgprAlpha], v[vgprValuC+8] // *= alpha ( Cr = Ar * Cr)
_v_mac_f32 v[vgprValuC+8], -s[sgprAlpha+1], v[vgprValuC+9] // *= alpha ( Cr += -Ai * Ci )
v_mul_f32 v[vgprValuC+9], s[sgprAlpha], v[vgprValuC+9] // *= alpha ( Ci = Ar * Ci)
_v_mac_f32 v[vgprValuC+9], s[sgprAlpha+1], v18     // *= alpha ( Ci += Ai * Cr_backup )
v_mov_b32 v18, v[vgprValuC+10]                     // store Cr
v_mul_f32 v[vgprValuC+10], s[sgprAlpha], v[vgprValuC+10] // *= alpha ( Cr = Ar * Cr)
_v_mac_f32 v[vgprValuC+10], -s[sgprAlpha+1], v[vgprValuC+11] // *= alpha ( Cr += -Ai * Ci )
v_mul_f32 v[vgprValuC+11], s[sgprAlpha], v[vgprValuC+11] // *= alpha ( Ci = Ar * Ci)
_v_mac_f32 v[vgprValuC+11], s[sgprAlpha+1], v18    // *= alpha ( Ci += Ai * Cr_backup )
v_mov_b32 v18, v[vgprValuC+14]                     // store Cr
v_mul_f32 v[vgprValuC+14], s[sgprAlpha], v[vgprValuC+14] // *= alpha ( Cr = Ar * Cr)
_v_mac_f32 v[vgprValuC+14], -s[sgprAlpha+1], v[vgprValuC+15] // *= alpha ( Cr += -Ai * Ci )
v_mul_f32 v[vgprValuC+15], s[sgprAlpha], v[vgprValuC+15] // *= alpha ( Ci = Ar * Ci)
_v_mac_f32 v[vgprValuC+15], s[sgprAlpha+1], v18    // *= alpha ( Ci += Ai * Cr_backup )
	;; [unrolled: 5-line block ×3, first 2 shown]

/* apply mask, calc new C and issue writes */
_buffer_store_b64 v[8:9], v6, s[sgprSrdD:sgprSrdD+3], 0, offen, offset:0,  nt // store D
_buffer_store_b64 v[10:11], v7, s[sgprSrdD:sgprSrdD+3], 0, offen, offset:0,  nt // store D
	;; [unrolled: 1-line block ×4, first 2 shown]
s_nop 0                                            // 1 wait state required when next inst writes vgprs held by previous dwordx4 store inst
/* optSingleColVgpr=0 optSharedColVgpr=0 optSGPRUsage=BufferLoad_Edge_Mask optSrdIncForRow=0 */
s_sleep 3 // optimization: sync and wait
s_barrier

/******************************************/
/* Global Write Alpha Edge Batch #3 (d1,d0,vc1,vc0) = */
/*    (0,3,1,0:vw1); (0,4,1,0:vw1); (0,5,1,0:vw1); (0,6,1,0:vw1) */
/******************************************/

/* calc coords, apply mask, and issue loads (if necessary) */
/* (d1,vc1,d0,vc0)=(0,1,3,0) */
_v_add_co_u32 v4, vcc, v0, 48                      // coord0.1: coord0 += d0*sg0*VW + vc0
v_cmp_lt_u32 s[56:57], v4, s[sgprSizeI]            // coord0 < size0
v_cmp_lt_u32 s[60:61], v1, s[sgprSizeJ]            // coord1 < size1
s_and_b64 s[60:61], s[56:57], s[60:61]             // in0 && in1
_v_add_lshl_u32 v6, v3, v4, 0x3                    // scaleToBpe: accumulate d0 lower and *= bpe into Cin addr
v_cndmask_b32 v6, -1, v6, s[60:61]                 // LDD clip if OOB. offset
/* (d1,vc1,d0,vc0)=(0,1,4,0) */
_v_add_co_u32 v4, vcc, v0, 64                      // coord0.1: coord0 += d0*sg0*VW + vc0
v_cmp_lt_u32 s[56:57], v4, s[sgprSizeI]            // coord0 < size0
v_cmp_lt_u32 s[60:61], v1, s[sgprSizeJ]            // coord1 < size1
s_and_b64 s[60:61], s[56:57], s[60:61]             // in0 && in1
_v_add_lshl_u32 v7, v3, v4, 0x3                    // scaleToBpe: accumulate d0 lower and *= bpe into Cin addr
v_cndmask_b32 v7, -1, v7, s[60:61]                 // LDD clip if OOB. offset
/* (d1,vc1,d0,vc0)=(0,1,5,0) */
s_mov_b32 s56, 80                                  // coordOffset0 d0=5 vc0=0
_v_add_co_u32 v4, vcc, v0, s56                     // coord0.2: coord0 += d0*sg0*VW + vc0
v_cmp_lt_u32 s[56:57], v4, s[sgprSizeI]            // coord0 < size0
v_cmp_lt_u32 s[60:61], v1, s[sgprSizeJ]            // coord1 < size1
s_and_b64 s[60:61], s[56:57], s[60:61]             // in0 && in1
_v_add_lshl_u32 v12, v3, v4, 0x3                   // scaleToBpe: accumulate d0 lower and *= bpe into Cin addr
v_cndmask_b32 v12, -1, v12, s[60:61]               // LDD clip if OOB. offset
/* (d1,vc1,d0,vc0)=(0,1,6,0) */
s_mov_b32 s56, 96                                  // coordOffset0 d0=6 vc0=0
_v_add_co_u32 v4, vcc, v0, s56                     // coord0.2: coord0 += d0*sg0*VW + vc0
v_cmp_lt_u32 s[56:57], v4, s[sgprSizeI]            // coord0 < size0
v_cmp_lt_u32 s[60:61], v1, s[sgprSizeJ]            // coord1 < size1
s_and_b64 s[60:61], s[56:57], s[60:61]             // in0 && in1
_v_add_lshl_u32 v13, v3, v4, 0x3                   // scaleToBpe: accumulate d0 lower and *= bpe into Cin addr
v_cndmask_b32 v13, -1, v13, s[60:61]               // LDD clip if OOB. offset
v_accvgpr_read_b32 v[vgprValuC+8], acc13 // copy acc to vreg[24]
v_accvgpr_read_b32 v[vgprValuC+9], acc85 // copy acc to vreg[25]
v_accvgpr_read_b32 v[vgprValuC+10], acc17 // copy acc to vreg[26]
v_accvgpr_read_b32 v[vgprValuC+11], acc89 // copy acc to vreg[27]
v_accvgpr_read_b32 v[vgprValuC+14], acc21 // copy acc to vreg[28]
v_accvgpr_read_b32 v[vgprValuC+15], acc93 // copy acc to vreg[29]
v_accvgpr_read_b32 v[vgprValuC+16], acc25 // copy acc to vreg[30]
v_accvgpr_read_b32 v[vgprValuC+17], acc97 // copy acc to vreg[31]
s_nop 1                                            // 2 wait states required before reading vgpr

/* rC *= alpha batchElements=[(0, 3, 1, 0), (0, 4, 1, 0), (0, 5, 1, 0), (0, 6, 1, 0)] */
v_mov_b32 v18, v[vgprValuC+8]                      // store Cr
v_mul_f32 v[vgprValuC+8], s[sgprAlpha], v[vgprValuC+8] // *= alpha ( Cr = Ar * Cr)
_v_mac_f32 v[vgprValuC+8], -s[sgprAlpha+1], v[vgprValuC+9] // *= alpha ( Cr += -Ai * Ci )
v_mul_f32 v[vgprValuC+9], s[sgprAlpha], v[vgprValuC+9] // *= alpha ( Ci = Ar * Ci)
_v_mac_f32 v[vgprValuC+9], s[sgprAlpha+1], v18     // *= alpha ( Ci += Ai * Cr_backup )
v_mov_b32 v18, v[vgprValuC+10]                     // store Cr
v_mul_f32 v[vgprValuC+10], s[sgprAlpha], v[vgprValuC+10] // *= alpha ( Cr = Ar * Cr)
_v_mac_f32 v[vgprValuC+10], -s[sgprAlpha+1], v[vgprValuC+11] // *= alpha ( Cr += -Ai * Ci )
v_mul_f32 v[vgprValuC+11], s[sgprAlpha], v[vgprValuC+11] // *= alpha ( Ci = Ar * Ci)
_v_mac_f32 v[vgprValuC+11], s[sgprAlpha+1], v18    // *= alpha ( Ci += Ai * Cr_backup )
v_mov_b32 v18, v[vgprValuC+14]                     // store Cr
v_mul_f32 v[vgprValuC+14], s[sgprAlpha], v[vgprValuC+14] // *= alpha ( Cr = Ar * Cr)
_v_mac_f32 v[vgprValuC+14], -s[sgprAlpha+1], v[vgprValuC+15] // *= alpha ( Cr += -Ai * Ci )
v_mul_f32 v[vgprValuC+15], s[sgprAlpha], v[vgprValuC+15] // *= alpha ( Ci = Ar * Ci)
_v_mac_f32 v[vgprValuC+15], s[sgprAlpha+1], v18    // *= alpha ( Ci += Ai * Cr_backup )
	;; [unrolled: 5-line block ×3, first 2 shown]

/* apply mask, calc new C and issue writes */
_buffer_store_b64 v[8:9], v6, s[sgprSrdD:sgprSrdD+3], 0, offen, offset:0,  nt // store D
_buffer_store_b64 v[10:11], v7, s[sgprSrdD:sgprSrdD+3], 0, offen, offset:0,  nt // store D
	;; [unrolled: 1-line block ×4, first 2 shown]
s_nop 0                                            // 1 wait state required when next inst writes vgprs held by previous dwordx4 store inst
/* optSingleColVgpr=0 optSharedColVgpr=0 optSGPRUsage=BufferLoad_Edge_Mask optSrdIncForRow=0 */
s_sleep 3 // optimization: sync and wait
s_barrier

/******************************************/
/* Global Write Alpha Edge Batch #4 (d1,d0,vc1,vc0) = */
/*    (0,7,1,0:vw1); (0,8,1,0:vw1); (0,0,2,0:vw1); (0,1,2,0:vw1) */
/******************************************/

/* calc coords, apply mask, and issue loads (if necessary) */
/* (d1,vc1,d0,vc0)=(0,1,7,0) */
s_mov_b32 s56, 112                                 // coordOffset0 d0=7 vc0=0
_v_add_co_u32 v4, vcc, v0, s56                     // coord0.2: coord0 += d0*sg0*VW + vc0
v_cmp_lt_u32 s[56:57], v4, s[sgprSizeI]            // coord0 < size0
v_cmp_lt_u32 s[60:61], v1, s[sgprSizeJ]            // coord1 < size1
s_and_b64 s[60:61], s[56:57], s[60:61]             // in0 && in1
_v_add_lshl_u32 v6, v3, v4, 0x3                    // scaleToBpe: accumulate d0 lower and *= bpe into Cin addr
v_cndmask_b32 v6, -1, v6, s[60:61]                 // LDD clip if OOB. offset
/* (d1,vc1,d0,vc0)=(0,1,8,0) */
s_mov_b32 s56, 128                                 // coordOffset0 d0=8 vc0=0
_v_add_co_u32 v4, vcc, v0, s56                     // coord0.2: coord0 += d0*sg0*VW + vc0
v_cmp_lt_u32 s[56:57], v4, s[sgprSizeI]            // coord0 < size0
v_cmp_lt_u32 s[60:61], v1, s[sgprSizeJ]            // coord1 < size1
s_and_b64 s[60:61], s[56:57], s[60:61]             // in0 && in1
_v_add_lshl_u32 v7, v3, v4, 0x3                    // scaleToBpe: accumulate d0 lower and *= bpe into Cin addr
v_cndmask_b32 v7, -1, v7, s[60:61]                 // LDD clip if OOB. offset
/* (d1,vc1,d0,vc0)=(0,2,0,0) */
_v_add_co_u32 v1, vcc, v1, 1                       // coord1.1: coord1Vgpr += d1*sg1*VW + vc1

/* Fix for UseInitialStridesCD, emitAddressSetupCode */
_v_add_u32 v2, v2, s[sgprStrideC1J]                // ROWINC- Move cinRowPtr to next row
_v_add_u32 v3, v3, s[sgprStrideD1J]                // Move coutRowPtr to next row
v_cmp_lt_u32 s[56:57], v0, s[sgprSizeI]            // coord0 < size0
v_cmp_lt_u32 s[60:61], v1, s[sgprSizeJ]            // coord1 < size1
s_and_b64 s[60:61], s[56:57], s[60:61]             // in0 && in1
_v_add_lshl_u32 v12, v3, v0, 0x3                   // scaleToBpe: accumulate d0 lower and *= bpe into Cin addr
v_cndmask_b32 v12, -1, v12, s[60:61]               // LDD clip if OOB. offset
/* (d1,vc1,d0,vc0)=(0,2,1,0) */
_v_add_co_u32 v4, vcc, v0, 16                      // coord0.1: coord0 += d0*sg0*VW + vc0
v_cmp_lt_u32 s[56:57], v4, s[sgprSizeI]            // coord0 < size0
v_cmp_lt_u32 s[60:61], v1, s[sgprSizeJ]            // coord1 < size1
s_and_b64 s[60:61], s[56:57], s[60:61]             // in0 && in1
_v_add_lshl_u32 v13, v3, v4, 0x3                   // scaleToBpe: accumulate d0 lower and *= bpe into Cin addr
v_cndmask_b32 v13, -1, v13, s[60:61]               // LDD clip if OOB. offset
v_accvgpr_read_b32 v[vgprValuC+8], acc29 // copy acc to vreg[32]
v_accvgpr_read_b32 v[vgprValuC+9], acc101 // copy acc to vreg[33]
v_accvgpr_read_b32 v[vgprValuC+10], acc33 // copy acc to vreg[34]
v_accvgpr_read_b32 v[vgprValuC+11], acc105 // copy acc to vreg[35]
v_accvgpr_read_b32 v[vgprValuC+14], acc2 // copy acc to vreg[36]
v_accvgpr_read_b32 v[vgprValuC+15], acc74 // copy acc to vreg[37]
v_accvgpr_read_b32 v[vgprValuC+16], acc6 // copy acc to vreg[38]
v_accvgpr_read_b32 v[vgprValuC+17], acc78 // copy acc to vreg[39]
s_nop 1                                            // 2 wait states required before reading vgpr

/* rC *= alpha batchElements=[(0, 7, 1, 0), (0, 8, 1, 0), (0, 0, 2, 0), (0, 1, 2, 0)] */
v_mov_b32 v18, v[vgprValuC+8]                      // store Cr
v_mul_f32 v[vgprValuC+8], s[sgprAlpha], v[vgprValuC+8] // *= alpha ( Cr = Ar * Cr)
_v_mac_f32 v[vgprValuC+8], -s[sgprAlpha+1], v[vgprValuC+9] // *= alpha ( Cr += -Ai * Ci )
v_mul_f32 v[vgprValuC+9], s[sgprAlpha], v[vgprValuC+9] // *= alpha ( Ci = Ar * Ci)
_v_mac_f32 v[vgprValuC+9], s[sgprAlpha+1], v18     // *= alpha ( Ci += Ai * Cr_backup )
v_mov_b32 v18, v[vgprValuC+10]                     // store Cr
v_mul_f32 v[vgprValuC+10], s[sgprAlpha], v[vgprValuC+10] // *= alpha ( Cr = Ar * Cr)
_v_mac_f32 v[vgprValuC+10], -s[sgprAlpha+1], v[vgprValuC+11] // *= alpha ( Cr += -Ai * Ci )
v_mul_f32 v[vgprValuC+11], s[sgprAlpha], v[vgprValuC+11] // *= alpha ( Ci = Ar * Ci)
_v_mac_f32 v[vgprValuC+11], s[sgprAlpha+1], v18    // *= alpha ( Ci += Ai * Cr_backup )
v_mov_b32 v18, v[vgprValuC+14]                     // store Cr
v_mul_f32 v[vgprValuC+14], s[sgprAlpha], v[vgprValuC+14] // *= alpha ( Cr = Ar * Cr)
_v_mac_f32 v[vgprValuC+14], -s[sgprAlpha+1], v[vgprValuC+15] // *= alpha ( Cr += -Ai * Ci )
v_mul_f32 v[vgprValuC+15], s[sgprAlpha], v[vgprValuC+15] // *= alpha ( Ci = Ar * Ci)
_v_mac_f32 v[vgprValuC+15], s[sgprAlpha+1], v18    // *= alpha ( Ci += Ai * Cr_backup )
	;; [unrolled: 5-line block ×3, first 2 shown]

/* apply mask, calc new C and issue writes */
_buffer_store_b64 v[8:9], v6, s[sgprSrdD:sgprSrdD+3], 0, offen, offset:0,  nt // store D
_buffer_store_b64 v[10:11], v7, s[sgprSrdD:sgprSrdD+3], 0, offen, offset:0,  nt // store D
	;; [unrolled: 1-line block ×4, first 2 shown]
s_nop 0                                            // 1 wait state required when next inst writes vgprs held by previous dwordx4 store inst
/* optSingleColVgpr=0 optSharedColVgpr=0 optSGPRUsage=BufferLoad_Edge_Mask optSrdIncForRow=0 */
s_sleep 3 // optimization: sync and wait
s_barrier

/******************************************/
/* Global Write Alpha Edge Batch #5 (d1,d0,vc1,vc0) = */
/*    (0,2,2,0:vw1); (0,3,2,0:vw1); (0,4,2,0:vw1); (0,5,2,0:vw1) */
/******************************************/

/* calc coords, apply mask, and issue loads (if necessary) */
/* (d1,vc1,d0,vc0)=(0,2,2,0) */
_v_add_co_u32 v4, vcc, v0, 32                      // coord0.1: coord0 += d0*sg0*VW + vc0
v_cmp_lt_u32 s[56:57], v4, s[sgprSizeI]            // coord0 < size0
v_cmp_lt_u32 s[60:61], v1, s[sgprSizeJ]            // coord1 < size1
s_and_b64 s[60:61], s[56:57], s[60:61]             // in0 && in1
_v_add_lshl_u32 v6, v3, v4, 0x3                    // scaleToBpe: accumulate d0 lower and *= bpe into Cin addr
v_cndmask_b32 v6, -1, v6, s[60:61]                 // LDD clip if OOB. offset
/* (d1,vc1,d0,vc0)=(0,2,3,0) */
_v_add_co_u32 v4, vcc, v0, 48                      // coord0.1: coord0 += d0*sg0*VW + vc0
v_cmp_lt_u32 s[56:57], v4, s[sgprSizeI]            // coord0 < size0
v_cmp_lt_u32 s[60:61], v1, s[sgprSizeJ]            // coord1 < size1
s_and_b64 s[60:61], s[56:57], s[60:61]             // in0 && in1
_v_add_lshl_u32 v7, v3, v4, 0x3                    // scaleToBpe: accumulate d0 lower and *= bpe into Cin addr
v_cndmask_b32 v7, -1, v7, s[60:61]                 // LDD clip if OOB. offset
/* (d1,vc1,d0,vc0)=(0,2,4,0) */
_v_add_co_u32 v4, vcc, v0, 64                      // coord0.1: coord0 += d0*sg0*VW + vc0
v_cmp_lt_u32 s[56:57], v4, s[sgprSizeI]            // coord0 < size0
v_cmp_lt_u32 s[60:61], v1, s[sgprSizeJ]            // coord1 < size1
s_and_b64 s[60:61], s[56:57], s[60:61]             // in0 && in1
_v_add_lshl_u32 v12, v3, v4, 0x3                   // scaleToBpe: accumulate d0 lower and *= bpe into Cin addr
v_cndmask_b32 v12, -1, v12, s[60:61]               // LDD clip if OOB. offset
/* (d1,vc1,d0,vc0)=(0,2,5,0) */
s_mov_b32 s56, 80                                  // coordOffset0 d0=5 vc0=0
_v_add_co_u32 v4, vcc, v0, s56                     // coord0.2: coord0 += d0*sg0*VW + vc0
v_cmp_lt_u32 s[56:57], v4, s[sgprSizeI]            // coord0 < size0
v_cmp_lt_u32 s[60:61], v1, s[sgprSizeJ]            // coord1 < size1
s_and_b64 s[60:61], s[56:57], s[60:61]             // in0 && in1
_v_add_lshl_u32 v13, v3, v4, 0x3                   // scaleToBpe: accumulate d0 lower and *= bpe into Cin addr
v_cndmask_b32 v13, -1, v13, s[60:61]               // LDD clip if OOB. offset
v_accvgpr_read_b32 v[vgprValuC+8], acc10 // copy acc to vreg[40]
v_accvgpr_read_b32 v[vgprValuC+9], acc82 // copy acc to vreg[41]
v_accvgpr_read_b32 v[vgprValuC+10], acc14 // copy acc to vreg[42]
v_accvgpr_read_b32 v[vgprValuC+11], acc86 // copy acc to vreg[43]
v_accvgpr_read_b32 v[vgprValuC+14], acc18 // copy acc to vreg[44]
v_accvgpr_read_b32 v[vgprValuC+15], acc90 // copy acc to vreg[45]
v_accvgpr_read_b32 v[vgprValuC+16], acc22 // copy acc to vreg[46]
v_accvgpr_read_b32 v[vgprValuC+17], acc94 // copy acc to vreg[47]
s_nop 1                                            // 2 wait states required before reading vgpr

/* rC *= alpha batchElements=[(0, 2, 2, 0), (0, 3, 2, 0), (0, 4, 2, 0), (0, 5, 2, 0)] */
v_mov_b32 v18, v[vgprValuC+8]                      // store Cr
v_mul_f32 v[vgprValuC+8], s[sgprAlpha], v[vgprValuC+8] // *= alpha ( Cr = Ar * Cr)
_v_mac_f32 v[vgprValuC+8], -s[sgprAlpha+1], v[vgprValuC+9] // *= alpha ( Cr += -Ai * Ci )
v_mul_f32 v[vgprValuC+9], s[sgprAlpha], v[vgprValuC+9] // *= alpha ( Ci = Ar * Ci)
_v_mac_f32 v[vgprValuC+9], s[sgprAlpha+1], v18     // *= alpha ( Ci += Ai * Cr_backup )
v_mov_b32 v18, v[vgprValuC+10]                     // store Cr
v_mul_f32 v[vgprValuC+10], s[sgprAlpha], v[vgprValuC+10] // *= alpha ( Cr = Ar * Cr)
_v_mac_f32 v[vgprValuC+10], -s[sgprAlpha+1], v[vgprValuC+11] // *= alpha ( Cr += -Ai * Ci )
v_mul_f32 v[vgprValuC+11], s[sgprAlpha], v[vgprValuC+11] // *= alpha ( Ci = Ar * Ci)
_v_mac_f32 v[vgprValuC+11], s[sgprAlpha+1], v18    // *= alpha ( Ci += Ai * Cr_backup )
v_mov_b32 v18, v[vgprValuC+14]                     // store Cr
v_mul_f32 v[vgprValuC+14], s[sgprAlpha], v[vgprValuC+14] // *= alpha ( Cr = Ar * Cr)
_v_mac_f32 v[vgprValuC+14], -s[sgprAlpha+1], v[vgprValuC+15] // *= alpha ( Cr += -Ai * Ci )
v_mul_f32 v[vgprValuC+15], s[sgprAlpha], v[vgprValuC+15] // *= alpha ( Ci = Ar * Ci)
_v_mac_f32 v[vgprValuC+15], s[sgprAlpha+1], v18    // *= alpha ( Ci += Ai * Cr_backup )
v_mov_b32 v18, v[vgprValuC+16]                     // store Cr
v_mul_f32 v[vgprValuC+16], s[sgprAlpha], v[vgprValuC+16] // *= alpha ( Cr = Ar * Cr)
_v_mac_f32 v[vgprValuC+16], -s[sgprAlpha+1], v[vgprValuC+17] // *= alpha ( Cr += -Ai * Ci )
v_mul_f32 v[vgprValuC+17], s[sgprAlpha], v[vgprValuC+17] // *= alpha ( Ci = Ar * Ci)
_v_mac_f32 v[vgprValuC+17], s[sgprAlpha+1], v18    // *= alpha ( Ci += Ai * Cr_backup )

/* apply mask, calc new C and issue writes */
_buffer_store_b64 v[8:9], v6, s[sgprSrdD:sgprSrdD+3], 0, offen, offset:0,  nt // store D
_buffer_store_b64 v[10:11], v7, s[sgprSrdD:sgprSrdD+3], 0, offen, offset:0,  nt // store D
	;; [unrolled: 1-line block ×4, first 2 shown]
s_nop 0                                            // 1 wait state required when next inst writes vgprs held by previous dwordx4 store inst
/* optSingleColVgpr=0 optSharedColVgpr=0 optSGPRUsage=BufferLoad_Edge_Mask optSrdIncForRow=0 */
s_sleep 3 // optimization: sync and wait
s_barrier

/******************************************/
/* Global Write Alpha Edge Batch #6 (d1,d0,vc1,vc0) = */
/*    (0,6,2,0:vw1); (0,7,2,0:vw1); (0,8,2,0:vw1); (0,0,3,0:vw1) */
/******************************************/

/* calc coords, apply mask, and issue loads (if necessary) */
/* (d1,vc1,d0,vc0)=(0,2,6,0) */
s_mov_b32 s56, 96                                  // coordOffset0 d0=6 vc0=0
_v_add_co_u32 v4, vcc, v0, s56                     // coord0.2: coord0 += d0*sg0*VW + vc0
v_cmp_lt_u32 s[56:57], v4, s[sgprSizeI]            // coord0 < size0
v_cmp_lt_u32 s[60:61], v1, s[sgprSizeJ]            // coord1 < size1
s_and_b64 s[60:61], s[56:57], s[60:61]             // in0 && in1
_v_add_lshl_u32 v6, v3, v4, 0x3                    // scaleToBpe: accumulate d0 lower and *= bpe into Cin addr
v_cndmask_b32 v6, -1, v6, s[60:61]                 // LDD clip if OOB. offset
/* (d1,vc1,d0,vc0)=(0,2,7,0) */
s_mov_b32 s56, 112                                 // coordOffset0 d0=7 vc0=0
_v_add_co_u32 v4, vcc, v0, s56                     // coord0.2: coord0 += d0*sg0*VW + vc0
v_cmp_lt_u32 s[56:57], v4, s[sgprSizeI]            // coord0 < size0
v_cmp_lt_u32 s[60:61], v1, s[sgprSizeJ]            // coord1 < size1
s_and_b64 s[60:61], s[56:57], s[60:61]             // in0 && in1
_v_add_lshl_u32 v7, v3, v4, 0x3                    // scaleToBpe: accumulate d0 lower and *= bpe into Cin addr
v_cndmask_b32 v7, -1, v7, s[60:61]                 // LDD clip if OOB. offset
/* (d1,vc1,d0,vc0)=(0,2,8,0) */
s_mov_b32 s56, 128                                 // coordOffset0 d0=8 vc0=0
_v_add_co_u32 v4, vcc, v0, s56                     // coord0.2: coord0 += d0*sg0*VW + vc0
v_cmp_lt_u32 s[56:57], v4, s[sgprSizeI]            // coord0 < size0
v_cmp_lt_u32 s[60:61], v1, s[sgprSizeJ]            // coord1 < size1
s_and_b64 s[60:61], s[56:57], s[60:61]             // in0 && in1
_v_add_lshl_u32 v12, v3, v4, 0x3                   // scaleToBpe: accumulate d0 lower and *= bpe into Cin addr
v_cndmask_b32 v12, -1, v12, s[60:61]               // LDD clip if OOB. offset
/* (d1,vc1,d0,vc0)=(0,3,0,0) */
_v_add_co_u32 v1, vcc, v1, 1                       // coord1.1: coord1Vgpr += d1*sg1*VW + vc1

/* Fix for UseInitialStridesCD, emitAddressSetupCode */
_v_add_u32 v2, v2, s[sgprStrideC1J]                // ROWINC- Move cinRowPtr to next row
_v_add_u32 v3, v3, s[sgprStrideD1J]                // Move coutRowPtr to next row
v_cmp_lt_u32 s[56:57], v0, s[sgprSizeI]            // coord0 < size0
v_cmp_lt_u32 s[60:61], v1, s[sgprSizeJ]            // coord1 < size1
s_and_b64 s[60:61], s[56:57], s[60:61]             // in0 && in1
_v_add_lshl_u32 v13, v3, v0, 0x3                   // scaleToBpe: accumulate d0 lower and *= bpe into Cin addr
v_cndmask_b32 v13, -1, v13, s[60:61]               // LDD clip if OOB. offset
v_accvgpr_read_b32 v[vgprValuC+8], acc26 // copy acc to vreg[48]
v_accvgpr_read_b32 v[vgprValuC+9], acc98 // copy acc to vreg[49]
v_accvgpr_read_b32 v[vgprValuC+10], acc30 // copy acc to vreg[50]
v_accvgpr_read_b32 v[vgprValuC+11], acc102 // copy acc to vreg[51]
v_accvgpr_read_b32 v[vgprValuC+14], acc34 // copy acc to vreg[52]
v_accvgpr_read_b32 v[vgprValuC+15], acc106 // copy acc to vreg[53]
v_accvgpr_read_b32 v[vgprValuC+16], acc3 // copy acc to vreg[54]
v_accvgpr_read_b32 v[vgprValuC+17], acc75 // copy acc to vreg[55]
s_nop 1                                            // 2 wait states required before reading vgpr

/* rC *= alpha batchElements=[(0, 6, 2, 0), (0, 7, 2, 0), (0, 8, 2, 0), (0, 0, 3, 0)] */
v_mov_b32 v18, v[vgprValuC+8]                      // store Cr
v_mul_f32 v[vgprValuC+8], s[sgprAlpha], v[vgprValuC+8] // *= alpha ( Cr = Ar * Cr)
_v_mac_f32 v[vgprValuC+8], -s[sgprAlpha+1], v[vgprValuC+9] // *= alpha ( Cr += -Ai * Ci )
v_mul_f32 v[vgprValuC+9], s[sgprAlpha], v[vgprValuC+9] // *= alpha ( Ci = Ar * Ci)
_v_mac_f32 v[vgprValuC+9], s[sgprAlpha+1], v18     // *= alpha ( Ci += Ai * Cr_backup )
v_mov_b32 v18, v[vgprValuC+10]                     // store Cr
v_mul_f32 v[vgprValuC+10], s[sgprAlpha], v[vgprValuC+10] // *= alpha ( Cr = Ar * Cr)
_v_mac_f32 v[vgprValuC+10], -s[sgprAlpha+1], v[vgprValuC+11] // *= alpha ( Cr += -Ai * Ci )
v_mul_f32 v[vgprValuC+11], s[sgprAlpha], v[vgprValuC+11] // *= alpha ( Ci = Ar * Ci)
_v_mac_f32 v[vgprValuC+11], s[sgprAlpha+1], v18    // *= alpha ( Ci += Ai * Cr_backup )
v_mov_b32 v18, v[vgprValuC+14]                     // store Cr
v_mul_f32 v[vgprValuC+14], s[sgprAlpha], v[vgprValuC+14] // *= alpha ( Cr = Ar * Cr)
_v_mac_f32 v[vgprValuC+14], -s[sgprAlpha+1], v[vgprValuC+15] // *= alpha ( Cr += -Ai * Ci )
v_mul_f32 v[vgprValuC+15], s[sgprAlpha], v[vgprValuC+15] // *= alpha ( Ci = Ar * Ci)
_v_mac_f32 v[vgprValuC+15], s[sgprAlpha+1], v18    // *= alpha ( Ci += Ai * Cr_backup )
	;; [unrolled: 5-line block ×3, first 2 shown]

/* apply mask, calc new C and issue writes */
_buffer_store_b64 v[8:9], v6, s[sgprSrdD:sgprSrdD+3], 0, offen, offset:0,  nt // store D
_buffer_store_b64 v[10:11], v7, s[sgprSrdD:sgprSrdD+3], 0, offen, offset:0,  nt // store D
	;; [unrolled: 1-line block ×4, first 2 shown]
s_nop 0                                            // 1 wait state required when next inst writes vgprs held by previous dwordx4 store inst
/* optSingleColVgpr=0 optSharedColVgpr=0 optSGPRUsage=BufferLoad_Edge_Mask optSrdIncForRow=0 */
s_sleep 3 // optimization: sync and wait
s_barrier

/******************************************/
/* Global Write Alpha Edge Batch #7 (d1,d0,vc1,vc0) = */
/*    (0,1,3,0:vw1); (0,2,3,0:vw1); (0,3,3,0:vw1); (0,4,3,0:vw1) */
/******************************************/

/* calc coords, apply mask, and issue loads (if necessary) */
/* (d1,vc1,d0,vc0)=(0,3,1,0) */
_v_add_co_u32 v4, vcc, v0, 16                      // coord0.1: coord0 += d0*sg0*VW + vc0
v_cmp_lt_u32 s[56:57], v4, s[sgprSizeI]            // coord0 < size0
v_cmp_lt_u32 s[60:61], v1, s[sgprSizeJ]            // coord1 < size1
s_and_b64 s[60:61], s[56:57], s[60:61]             // in0 && in1
_v_add_lshl_u32 v6, v3, v4, 0x3                    // scaleToBpe: accumulate d0 lower and *= bpe into Cin addr
v_cndmask_b32 v6, -1, v6, s[60:61]                 // LDD clip if OOB. offset
/* (d1,vc1,d0,vc0)=(0,3,2,0) */
_v_add_co_u32 v4, vcc, v0, 32                      // coord0.1: coord0 += d0*sg0*VW + vc0
v_cmp_lt_u32 s[56:57], v4, s[sgprSizeI]            // coord0 < size0
v_cmp_lt_u32 s[60:61], v1, s[sgprSizeJ]            // coord1 < size1
s_and_b64 s[60:61], s[56:57], s[60:61]             // in0 && in1
_v_add_lshl_u32 v7, v3, v4, 0x3                    // scaleToBpe: accumulate d0 lower and *= bpe into Cin addr
v_cndmask_b32 v7, -1, v7, s[60:61]                 // LDD clip if OOB. offset
/* (d1,vc1,d0,vc0)=(0,3,3,0) */
_v_add_co_u32 v4, vcc, v0, 48                      // coord0.1: coord0 += d0*sg0*VW + vc0
v_cmp_lt_u32 s[56:57], v4, s[sgprSizeI]            // coord0 < size0
v_cmp_lt_u32 s[60:61], v1, s[sgprSizeJ]            // coord1 < size1
s_and_b64 s[60:61], s[56:57], s[60:61]             // in0 && in1
_v_add_lshl_u32 v12, v3, v4, 0x3                   // scaleToBpe: accumulate d0 lower and *= bpe into Cin addr
v_cndmask_b32 v12, -1, v12, s[60:61]               // LDD clip if OOB. offset
/* (d1,vc1,d0,vc0)=(0,3,4,0) */
_v_add_co_u32 v4, vcc, v0, 64                      // coord0.1: coord0 += d0*sg0*VW + vc0
v_cmp_lt_u32 s[56:57], v4, s[sgprSizeI]            // coord0 < size0
v_cmp_lt_u32 s[60:61], v1, s[sgprSizeJ]            // coord1 < size1
s_and_b64 s[60:61], s[56:57], s[60:61]             // in0 && in1
_v_add_lshl_u32 v13, v3, v4, 0x3                   // scaleToBpe: accumulate d0 lower and *= bpe into Cin addr
v_cndmask_b32 v13, -1, v13, s[60:61]               // LDD clip if OOB. offset
v_accvgpr_read_b32 v[vgprValuC+8], acc7 // copy acc to vreg[56]
v_accvgpr_read_b32 v[vgprValuC+9], acc79 // copy acc to vreg[57]
v_accvgpr_read_b32 v[vgprValuC+10], acc11 // copy acc to vreg[58]
v_accvgpr_read_b32 v[vgprValuC+11], acc83 // copy acc to vreg[59]
v_accvgpr_read_b32 v[vgprValuC+14], acc15 // copy acc to vreg[60]
v_accvgpr_read_b32 v[vgprValuC+15], acc87 // copy acc to vreg[61]
v_accvgpr_read_b32 v[vgprValuC+16], acc19 // copy acc to vreg[62]
v_accvgpr_read_b32 v[vgprValuC+17], acc91 // copy acc to vreg[63]
s_nop 1                                            // 2 wait states required before reading vgpr

/* rC *= alpha batchElements=[(0, 1, 3, 0), (0, 2, 3, 0), (0, 3, 3, 0), (0, 4, 3, 0)] */
v_mov_b32 v18, v[vgprValuC+8]                      // store Cr
v_mul_f32 v[vgprValuC+8], s[sgprAlpha], v[vgprValuC+8] // *= alpha ( Cr = Ar * Cr)
_v_mac_f32 v[vgprValuC+8], -s[sgprAlpha+1], v[vgprValuC+9] // *= alpha ( Cr += -Ai * Ci )
v_mul_f32 v[vgprValuC+9], s[sgprAlpha], v[vgprValuC+9] // *= alpha ( Ci = Ar * Ci)
_v_mac_f32 v[vgprValuC+9], s[sgprAlpha+1], v18     // *= alpha ( Ci += Ai * Cr_backup )
v_mov_b32 v18, v[vgprValuC+10]                     // store Cr
v_mul_f32 v[vgprValuC+10], s[sgprAlpha], v[vgprValuC+10] // *= alpha ( Cr = Ar * Cr)
_v_mac_f32 v[vgprValuC+10], -s[sgprAlpha+1], v[vgprValuC+11] // *= alpha ( Cr += -Ai * Ci )
v_mul_f32 v[vgprValuC+11], s[sgprAlpha], v[vgprValuC+11] // *= alpha ( Ci = Ar * Ci)
_v_mac_f32 v[vgprValuC+11], s[sgprAlpha+1], v18    // *= alpha ( Ci += Ai * Cr_backup )
v_mov_b32 v18, v[vgprValuC+14]                     // store Cr
v_mul_f32 v[vgprValuC+14], s[sgprAlpha], v[vgprValuC+14] // *= alpha ( Cr = Ar * Cr)
_v_mac_f32 v[vgprValuC+14], -s[sgprAlpha+1], v[vgprValuC+15] // *= alpha ( Cr += -Ai * Ci )
v_mul_f32 v[vgprValuC+15], s[sgprAlpha], v[vgprValuC+15] // *= alpha ( Ci = Ar * Ci)
_v_mac_f32 v[vgprValuC+15], s[sgprAlpha+1], v18    // *= alpha ( Ci += Ai * Cr_backup )
v_mov_b32 v18, v[vgprValuC+16]                     // store Cr
v_mul_f32 v[vgprValuC+16], s[sgprAlpha], v[vgprValuC+16] // *= alpha ( Cr = Ar * Cr)
_v_mac_f32 v[vgprValuC+16], -s[sgprAlpha+1], v[vgprValuC+17] // *= alpha ( Cr += -Ai * Ci )
v_mul_f32 v[vgprValuC+17], s[sgprAlpha], v[vgprValuC+17] // *= alpha ( Ci = Ar * Ci)
_v_mac_f32 v[vgprValuC+17], s[sgprAlpha+1], v18    // *= alpha ( Ci += Ai * Cr_backup )

/* apply mask, calc new C and issue writes */
_buffer_store_b64 v[8:9], v6, s[sgprSrdD:sgprSrdD+3], 0, offen, offset:0,  nt // store D
_buffer_store_b64 v[10:11], v7, s[sgprSrdD:sgprSrdD+3], 0, offen, offset:0,  nt // store D
	;; [unrolled: 1-line block ×4, first 2 shown]
s_nop 0                                            // 1 wait state required when next inst writes vgprs held by previous dwordx4 store inst
/* optSingleColVgpr=0 optSharedColVgpr=0 optSGPRUsage=BufferLoad_Edge_Mask optSrdIncForRow=0 */
s_sleep 3 // optimization: sync and wait
s_barrier

/******************************************/
/* Global Write Alpha Edge Batch #8 (d1,d0,vc1,vc0) = */
/*    (0,5,3,0:vw1); (0,6,3,0:vw1); (0,7,3,0:vw1); (0,8,3,0:vw1) */
/******************************************/

/* calc coords, apply mask, and issue loads (if necessary) */
/* (d1,vc1,d0,vc0)=(0,3,5,0) */
s_mov_b32 s56, 80                                  // coordOffset0 d0=5 vc0=0
_v_add_co_u32 v4, vcc, v0, s56                     // coord0.2: coord0 += d0*sg0*VW + vc0
v_cmp_lt_u32 s[56:57], v4, s[sgprSizeI]            // coord0 < size0
v_cmp_lt_u32 s[60:61], v1, s[sgprSizeJ]            // coord1 < size1
s_and_b64 s[60:61], s[56:57], s[60:61]             // in0 && in1
_v_add_lshl_u32 v6, v3, v4, 0x3                    // scaleToBpe: accumulate d0 lower and *= bpe into Cin addr
v_cndmask_b32 v6, -1, v6, s[60:61]                 // LDD clip if OOB. offset
/* (d1,vc1,d0,vc0)=(0,3,6,0) */
s_mov_b32 s56, 96                                  // coordOffset0 d0=6 vc0=0
_v_add_co_u32 v4, vcc, v0, s56                     // coord0.2: coord0 += d0*sg0*VW + vc0
v_cmp_lt_u32 s[56:57], v4, s[sgprSizeI]            // coord0 < size0
v_cmp_lt_u32 s[60:61], v1, s[sgprSizeJ]            // coord1 < size1
s_and_b64 s[60:61], s[56:57], s[60:61]             // in0 && in1
_v_add_lshl_u32 v7, v3, v4, 0x3                    // scaleToBpe: accumulate d0 lower and *= bpe into Cin addr
v_cndmask_b32 v7, -1, v7, s[60:61]                 // LDD clip if OOB. offset
/* (d1,vc1,d0,vc0)=(0,3,7,0) */
s_mov_b32 s56, 112                                 // coordOffset0 d0=7 vc0=0
_v_add_co_u32 v4, vcc, v0, s56                     // coord0.2: coord0 += d0*sg0*VW + vc0
v_cmp_lt_u32 s[56:57], v4, s[sgprSizeI]            // coord0 < size0
v_cmp_lt_u32 s[60:61], v1, s[sgprSizeJ]            // coord1 < size1
s_and_b64 s[60:61], s[56:57], s[60:61]             // in0 && in1
_v_add_lshl_u32 v12, v3, v4, 0x3                   // scaleToBpe: accumulate d0 lower and *= bpe into Cin addr
v_cndmask_b32 v12, -1, v12, s[60:61]               // LDD clip if OOB. offset
/* (d1,vc1,d0,vc0)=(0,3,8,0) */
s_mov_b32 s56, 128                                 // coordOffset0 d0=8 vc0=0
_v_add_co_u32 v4, vcc, v0, s56                     // coord0.2: coord0 += d0*sg0*VW + vc0
v_cmp_lt_u32 s[56:57], v4, s[sgprSizeI]            // coord0 < size0
v_cmp_lt_u32 s[60:61], v1, s[sgprSizeJ]            // coord1 < size1
s_and_b64 s[60:61], s[56:57], s[60:61]             // in0 && in1
_v_add_lshl_u32 v13, v3, v4, 0x3                   // scaleToBpe: accumulate d0 lower and *= bpe into Cin addr
v_cndmask_b32 v13, -1, v13, s[60:61]               // LDD clip if OOB. offset
v_accvgpr_read_b32 v[vgprValuC+8], acc23 // copy acc to vreg[64]
v_accvgpr_read_b32 v[vgprValuC+9], acc95 // copy acc to vreg[65]
v_accvgpr_read_b32 v[vgprValuC+10], acc27 // copy acc to vreg[66]
v_accvgpr_read_b32 v[vgprValuC+11], acc99 // copy acc to vreg[67]
v_accvgpr_read_b32 v[vgprValuC+14], acc31 // copy acc to vreg[68]
v_accvgpr_read_b32 v[vgprValuC+15], acc103 // copy acc to vreg[69]
v_accvgpr_read_b32 v[vgprValuC+16], acc35 // copy acc to vreg[70]
v_accvgpr_read_b32 v[vgprValuC+17], acc107 // copy acc to vreg[71]
s_nop 1                                            // 2 wait states required before reading vgpr

/* rC *= alpha batchElements=[(0, 5, 3, 0), (0, 6, 3, 0), (0, 7, 3, 0), (0, 8, 3, 0)] */
v_mov_b32 v18, v[vgprValuC+8]                      // store Cr
v_mul_f32 v[vgprValuC+8], s[sgprAlpha], v[vgprValuC+8] // *= alpha ( Cr = Ar * Cr)
_v_mac_f32 v[vgprValuC+8], -s[sgprAlpha+1], v[vgprValuC+9] // *= alpha ( Cr += -Ai * Ci )
v_mul_f32 v[vgprValuC+9], s[sgprAlpha], v[vgprValuC+9] // *= alpha ( Ci = Ar * Ci)
_v_mac_f32 v[vgprValuC+9], s[sgprAlpha+1], v18     // *= alpha ( Ci += Ai * Cr_backup )
v_mov_b32 v18, v[vgprValuC+10]                     // store Cr
v_mul_f32 v[vgprValuC+10], s[sgprAlpha], v[vgprValuC+10] // *= alpha ( Cr = Ar * Cr)
_v_mac_f32 v[vgprValuC+10], -s[sgprAlpha+1], v[vgprValuC+11] // *= alpha ( Cr += -Ai * Ci )
v_mul_f32 v[vgprValuC+11], s[sgprAlpha], v[vgprValuC+11] // *= alpha ( Ci = Ar * Ci)
_v_mac_f32 v[vgprValuC+11], s[sgprAlpha+1], v18    // *= alpha ( Ci += Ai * Cr_backup )
v_mov_b32 v18, v[vgprValuC+14]                     // store Cr
v_mul_f32 v[vgprValuC+14], s[sgprAlpha], v[vgprValuC+14] // *= alpha ( Cr = Ar * Cr)
_v_mac_f32 v[vgprValuC+14], -s[sgprAlpha+1], v[vgprValuC+15] // *= alpha ( Cr += -Ai * Ci )
v_mul_f32 v[vgprValuC+15], s[sgprAlpha], v[vgprValuC+15] // *= alpha ( Ci = Ar * Ci)
_v_mac_f32 v[vgprValuC+15], s[sgprAlpha+1], v18    // *= alpha ( Ci += Ai * Cr_backup )
	;; [unrolled: 5-line block ×3, first 2 shown]

/* apply mask, calc new C and issue writes */
_buffer_store_b64 v[8:9], v6, s[sgprSrdD:sgprSrdD+3], 0, offen, offset:0,  nt // store D
_buffer_store_b64 v[10:11], v7, s[sgprSrdD:sgprSrdD+3], 0, offen, offset:0,  nt // store D
	;; [unrolled: 1-line block ×4, first 2 shown]
s_nop 0                                            // 1 wait state required when next inst writes vgprs held by previous dwordx4 store inst
/* optSingleColVgpr=0 optSharedColVgpr=0 optSGPRUsage=BufferLoad_Edge_Mask optSrdIncForRow=0 */
s_sleep 3 // optimization: sync and wait
s_barrier

/******************************************/
/* Global Write Alpha Edge Batch #9 (d1,d0,vc1,vc0) = */
/*    (1,0,0,0:vw1); (1,1,0,0:vw1); (1,2,0,0:vw1); (1,3,0,0:vw1) */
/******************************************/

/* calc coords, apply mask, and issue loads (if necessary) */
/* (d1,vc1,d0,vc0)=(1,0,0,0) */
_v_add_co_u32 v1, vcc, v1, 61                      // coord1.1: coord1Vgpr += d1*sg1*VW + vc1

/* Fix for UseInitialStridesCD, emitAddressSetupCode */
s_mul_i32 s56, s[sgprStrideC1J], 61                // scale stride
_v_add_u32 v2, v2, s56                             // ROWINC- Move cinRowPtr to next row
s_mul_i32 s56, s[sgprStrideD1J], 61                // scale stride
_v_add_u32 v3, v3, s56                             // Move coutRowPtr to next row
v_cmp_lt_u32 s[56:57], v0, s[sgprSizeI]            // coord0 < size0
v_cmp_lt_u32 s[60:61], v1, s[sgprSizeJ]            // coord1 < size1
s_and_b64 s[60:61], s[56:57], s[60:61]             // in0 && in1
_v_add_lshl_u32 v6, v3, v0, 0x3                    // scaleToBpe: accumulate d0 lower and *= bpe into Cin addr
v_cndmask_b32 v6, -1, v6, s[60:61]                 // LDD clip if OOB. offset
/* (d1,vc1,d0,vc0)=(1,0,1,0) */
_v_add_co_u32 v4, vcc, v0, 16                      // coord0.1: coord0 += d0*sg0*VW + vc0
v_cmp_lt_u32 s[56:57], v4, s[sgprSizeI]            // coord0 < size0
v_cmp_lt_u32 s[60:61], v1, s[sgprSizeJ]            // coord1 < size1
s_and_b64 s[60:61], s[56:57], s[60:61]             // in0 && in1
_v_add_lshl_u32 v7, v3, v4, 0x3                    // scaleToBpe: accumulate d0 lower and *= bpe into Cin addr
v_cndmask_b32 v7, -1, v7, s[60:61]                 // LDD clip if OOB. offset
/* (d1,vc1,d0,vc0)=(1,0,2,0) */
_v_add_co_u32 v4, vcc, v0, 32                      // coord0.1: coord0 += d0*sg0*VW + vc0
v_cmp_lt_u32 s[56:57], v4, s[sgprSizeI]            // coord0 < size0
v_cmp_lt_u32 s[60:61], v1, s[sgprSizeJ]            // coord1 < size1
s_and_b64 s[60:61], s[56:57], s[60:61]             // in0 && in1
_v_add_lshl_u32 v12, v3, v4, 0x3                   // scaleToBpe: accumulate d0 lower and *= bpe into Cin addr
v_cndmask_b32 v12, -1, v12, s[60:61]               // LDD clip if OOB. offset
/* (d1,vc1,d0,vc0)=(1,0,3,0) */
_v_add_co_u32 v4, vcc, v0, 48                      // coord0.1: coord0 += d0*sg0*VW + vc0
v_cmp_lt_u32 s[56:57], v4, s[sgprSizeI]            // coord0 < size0
v_cmp_lt_u32 s[60:61], v1, s[sgprSizeJ]            // coord1 < size1
s_and_b64 s[60:61], s[56:57], s[60:61]             // in0 && in1
_v_add_lshl_u32 v13, v3, v4, 0x3                   // scaleToBpe: accumulate d0 lower and *= bpe into Cin addr
v_cndmask_b32 v13, -1, v13, s[60:61]               // LDD clip if OOB. offset
v_accvgpr_read_b32 v[vgprValuC+8], acc36 // copy acc to vreg[72]
v_accvgpr_read_b32 v[vgprValuC+9], acc108 // copy acc to vreg[73]
v_accvgpr_read_b32 v[vgprValuC+10], acc40 // copy acc to vreg[74]
v_accvgpr_read_b32 v[vgprValuC+11], acc112 // copy acc to vreg[75]
v_accvgpr_read_b32 v[vgprValuC+14], acc44 // copy acc to vreg[76]
v_accvgpr_read_b32 v[vgprValuC+15], acc116 // copy acc to vreg[77]
v_accvgpr_read_b32 v[vgprValuC+16], acc48 // copy acc to vreg[78]
v_accvgpr_read_b32 v[vgprValuC+17], acc120 // copy acc to vreg[79]
s_nop 1                                            // 2 wait states required before reading vgpr

/* rC *= alpha batchElements=[(1, 0, 0, 0), (1, 1, 0, 0), (1, 2, 0, 0), (1, 3, 0, 0)] */
v_mov_b32 v18, v[vgprValuC+8]                      // store Cr
v_mul_f32 v[vgprValuC+8], s[sgprAlpha], v[vgprValuC+8] // *= alpha ( Cr = Ar * Cr)
_v_mac_f32 v[vgprValuC+8], -s[sgprAlpha+1], v[vgprValuC+9] // *= alpha ( Cr += -Ai * Ci )
v_mul_f32 v[vgprValuC+9], s[sgprAlpha], v[vgprValuC+9] // *= alpha ( Ci = Ar * Ci)
_v_mac_f32 v[vgprValuC+9], s[sgprAlpha+1], v18     // *= alpha ( Ci += Ai * Cr_backup )
v_mov_b32 v18, v[vgprValuC+10]                     // store Cr
v_mul_f32 v[vgprValuC+10], s[sgprAlpha], v[vgprValuC+10] // *= alpha ( Cr = Ar * Cr)
_v_mac_f32 v[vgprValuC+10], -s[sgprAlpha+1], v[vgprValuC+11] // *= alpha ( Cr += -Ai * Ci )
v_mul_f32 v[vgprValuC+11], s[sgprAlpha], v[vgprValuC+11] // *= alpha ( Ci = Ar * Ci)
_v_mac_f32 v[vgprValuC+11], s[sgprAlpha+1], v18    // *= alpha ( Ci += Ai * Cr_backup )
v_mov_b32 v18, v[vgprValuC+14]                     // store Cr
v_mul_f32 v[vgprValuC+14], s[sgprAlpha], v[vgprValuC+14] // *= alpha ( Cr = Ar * Cr)
_v_mac_f32 v[vgprValuC+14], -s[sgprAlpha+1], v[vgprValuC+15] // *= alpha ( Cr += -Ai * Ci )
v_mul_f32 v[vgprValuC+15], s[sgprAlpha], v[vgprValuC+15] // *= alpha ( Ci = Ar * Ci)
_v_mac_f32 v[vgprValuC+15], s[sgprAlpha+1], v18    // *= alpha ( Ci += Ai * Cr_backup )
	;; [unrolled: 5-line block ×3, first 2 shown]

/* apply mask, calc new C and issue writes */
_buffer_store_b64 v[8:9], v6, s[sgprSrdD:sgprSrdD+3], 0, offen, offset:0,  nt // store D
_buffer_store_b64 v[10:11], v7, s[sgprSrdD:sgprSrdD+3], 0, offen, offset:0,  nt // store D
_buffer_store_b64 v[14:15], v12, s[sgprSrdD:sgprSrdD+3], 0, offen, offset:0,  nt // store D
_buffer_store_b64 v[16:17], v13, s[sgprSrdD:sgprSrdD+3], 0, offen, offset:0,  nt // store D
s_nop 0                                            // 1 wait state required when next inst writes vgprs held by previous dwordx4 store inst
/* optSingleColVgpr=0 optSharedColVgpr=0 optSGPRUsage=BufferLoad_Edge_Mask optSrdIncForRow=0 */
s_sleep 3 // optimization: sync and wait
s_barrier

/******************************************/
/* Global Write Alpha Edge Batch #10 (d1,d0,vc1,vc0) = */
/*    (1,4,0,0:vw1); (1,5,0,0:vw1); (1,6,0,0:vw1); (1,7,0,0:vw1) */
/******************************************/

/* calc coords, apply mask, and issue loads (if necessary) */
/* (d1,vc1,d0,vc0)=(1,0,4,0) */
_v_add_co_u32 v4, vcc, v0, 64                      // coord0.1: coord0 += d0*sg0*VW + vc0
v_cmp_lt_u32 s[56:57], v4, s[sgprSizeI]            // coord0 < size0
v_cmp_lt_u32 s[60:61], v1, s[sgprSizeJ]            // coord1 < size1
s_and_b64 s[60:61], s[56:57], s[60:61]             // in0 && in1
_v_add_lshl_u32 v6, v3, v4, 0x3                    // scaleToBpe: accumulate d0 lower and *= bpe into Cin addr
v_cndmask_b32 v6, -1, v6, s[60:61]                 // LDD clip if OOB. offset
/* (d1,vc1,d0,vc0)=(1,0,5,0) */
s_mov_b32 s56, 80                                  // coordOffset0 d0=5 vc0=0
_v_add_co_u32 v4, vcc, v0, s56                     // coord0.2: coord0 += d0*sg0*VW + vc0
v_cmp_lt_u32 s[56:57], v4, s[sgprSizeI]            // coord0 < size0
v_cmp_lt_u32 s[60:61], v1, s[sgprSizeJ]            // coord1 < size1
s_and_b64 s[60:61], s[56:57], s[60:61]             // in0 && in1
_v_add_lshl_u32 v7, v3, v4, 0x3                    // scaleToBpe: accumulate d0 lower and *= bpe into Cin addr
v_cndmask_b32 v7, -1, v7, s[60:61]                 // LDD clip if OOB. offset
/* (d1,vc1,d0,vc0)=(1,0,6,0) */
s_mov_b32 s56, 96                                  // coordOffset0 d0=6 vc0=0
_v_add_co_u32 v4, vcc, v0, s56                     // coord0.2: coord0 += d0*sg0*VW + vc0
v_cmp_lt_u32 s[56:57], v4, s[sgprSizeI]            // coord0 < size0
v_cmp_lt_u32 s[60:61], v1, s[sgprSizeJ]            // coord1 < size1
s_and_b64 s[60:61], s[56:57], s[60:61]             // in0 && in1
_v_add_lshl_u32 v12, v3, v4, 0x3                   // scaleToBpe: accumulate d0 lower and *= bpe into Cin addr
v_cndmask_b32 v12, -1, v12, s[60:61]               // LDD clip if OOB. offset
/* (d1,vc1,d0,vc0)=(1,0,7,0) */
s_mov_b32 s56, 112                                 // coordOffset0 d0=7 vc0=0
_v_add_co_u32 v4, vcc, v0, s56                     // coord0.2: coord0 += d0*sg0*VW + vc0
v_cmp_lt_u32 s[56:57], v4, s[sgprSizeI]            // coord0 < size0
v_cmp_lt_u32 s[60:61], v1, s[sgprSizeJ]            // coord1 < size1
s_and_b64 s[60:61], s[56:57], s[60:61]             // in0 && in1
_v_add_lshl_u32 v13, v3, v4, 0x3                   // scaleToBpe: accumulate d0 lower and *= bpe into Cin addr
v_cndmask_b32 v13, -1, v13, s[60:61]               // LDD clip if OOB. offset
v_accvgpr_read_b32 v[vgprValuC+8], acc52 // copy acc to vreg[80]
v_accvgpr_read_b32 v[vgprValuC+9], acc124 // copy acc to vreg[81]
v_accvgpr_read_b32 v[vgprValuC+10], acc56 // copy acc to vreg[82]
v_accvgpr_read_b32 v[vgprValuC+11], acc128 // copy acc to vreg[83]
v_accvgpr_read_b32 v[vgprValuC+14], acc60 // copy acc to vreg[84]
v_accvgpr_read_b32 v[vgprValuC+15], acc132 // copy acc to vreg[85]
v_accvgpr_read_b32 v[vgprValuC+16], acc64 // copy acc to vreg[86]
v_accvgpr_read_b32 v[vgprValuC+17], acc136 // copy acc to vreg[87]
s_nop 1                                            // 2 wait states required before reading vgpr

/* rC *= alpha batchElements=[(1, 4, 0, 0), (1, 5, 0, 0), (1, 6, 0, 0), (1, 7, 0, 0)] */
v_mov_b32 v18, v[vgprValuC+8]                      // store Cr
v_mul_f32 v[vgprValuC+8], s[sgprAlpha], v[vgprValuC+8] // *= alpha ( Cr = Ar * Cr)
_v_mac_f32 v[vgprValuC+8], -s[sgprAlpha+1], v[vgprValuC+9] // *= alpha ( Cr += -Ai * Ci )
v_mul_f32 v[vgprValuC+9], s[sgprAlpha], v[vgprValuC+9] // *= alpha ( Ci = Ar * Ci)
_v_mac_f32 v[vgprValuC+9], s[sgprAlpha+1], v18     // *= alpha ( Ci += Ai * Cr_backup )
v_mov_b32 v18, v[vgprValuC+10]                     // store Cr
v_mul_f32 v[vgprValuC+10], s[sgprAlpha], v[vgprValuC+10] // *= alpha ( Cr = Ar * Cr)
_v_mac_f32 v[vgprValuC+10], -s[sgprAlpha+1], v[vgprValuC+11] // *= alpha ( Cr += -Ai * Ci )
v_mul_f32 v[vgprValuC+11], s[sgprAlpha], v[vgprValuC+11] // *= alpha ( Ci = Ar * Ci)
_v_mac_f32 v[vgprValuC+11], s[sgprAlpha+1], v18    // *= alpha ( Ci += Ai * Cr_backup )
v_mov_b32 v18, v[vgprValuC+14]                     // store Cr
v_mul_f32 v[vgprValuC+14], s[sgprAlpha], v[vgprValuC+14] // *= alpha ( Cr = Ar * Cr)
_v_mac_f32 v[vgprValuC+14], -s[sgprAlpha+1], v[vgprValuC+15] // *= alpha ( Cr += -Ai * Ci )
v_mul_f32 v[vgprValuC+15], s[sgprAlpha], v[vgprValuC+15] // *= alpha ( Ci = Ar * Ci)
_v_mac_f32 v[vgprValuC+15], s[sgprAlpha+1], v18    // *= alpha ( Ci += Ai * Cr_backup )
v_mov_b32 v18, v[vgprValuC+16]                     // store Cr
v_mul_f32 v[vgprValuC+16], s[sgprAlpha], v[vgprValuC+16] // *= alpha ( Cr = Ar * Cr)
_v_mac_f32 v[vgprValuC+16], -s[sgprAlpha+1], v[vgprValuC+17] // *= alpha ( Cr += -Ai * Ci )
v_mul_f32 v[vgprValuC+17], s[sgprAlpha], v[vgprValuC+17] // *= alpha ( Ci = Ar * Ci)
_v_mac_f32 v[vgprValuC+17], s[sgprAlpha+1], v18    // *= alpha ( Ci += Ai * Cr_backup )

/* apply mask, calc new C and issue writes */
_buffer_store_b64 v[8:9], v6, s[sgprSrdD:sgprSrdD+3], 0, offen, offset:0,  nt // store D
_buffer_store_b64 v[10:11], v7, s[sgprSrdD:sgprSrdD+3], 0, offen, offset:0,  nt // store D
	;; [unrolled: 1-line block ×4, first 2 shown]
s_nop 0                                            // 1 wait state required when next inst writes vgprs held by previous dwordx4 store inst
/* optSingleColVgpr=0 optSharedColVgpr=0 optSGPRUsage=BufferLoad_Edge_Mask optSrdIncForRow=0 */
s_sleep 3 // optimization: sync and wait
s_barrier

/******************************************/
/* Global Write Alpha Edge Batch #11 (d1,d0,vc1,vc0) = */
/*    (1,8,0,0:vw1); (1,0,1,0:vw1); (1,1,1,0:vw1); (1,2,1,0:vw1) */
/******************************************/

/* calc coords, apply mask, and issue loads (if necessary) */
/* (d1,vc1,d0,vc0)=(1,0,8,0) */
s_mov_b32 s56, 128                                 // coordOffset0 d0=8 vc0=0
_v_add_co_u32 v4, vcc, v0, s56                     // coord0.2: coord0 += d0*sg0*VW + vc0
v_cmp_lt_u32 s[56:57], v4, s[sgprSizeI]            // coord0 < size0
v_cmp_lt_u32 s[60:61], v1, s[sgprSizeJ]            // coord1 < size1
s_and_b64 s[60:61], s[56:57], s[60:61]             // in0 && in1
_v_add_lshl_u32 v6, v3, v4, 0x3                    // scaleToBpe: accumulate d0 lower and *= bpe into Cin addr
v_cndmask_b32 v6, -1, v6, s[60:61]                 // LDD clip if OOB. offset
/* (d1,vc1,d0,vc0)=(1,1,0,0) */
_v_add_co_u32 v1, vcc, v1, 1                       // coord1.1: coord1Vgpr += d1*sg1*VW + vc1

/* Fix for UseInitialStridesCD, emitAddressSetupCode */
_v_add_u32 v2, v2, s[sgprStrideC1J]                // ROWINC- Move cinRowPtr to next row
_v_add_u32 v3, v3, s[sgprStrideD1J]                // Move coutRowPtr to next row
v_cmp_lt_u32 s[56:57], v0, s[sgprSizeI]            // coord0 < size0
v_cmp_lt_u32 s[60:61], v1, s[sgprSizeJ]            // coord1 < size1
s_and_b64 s[60:61], s[56:57], s[60:61]             // in0 && in1
_v_add_lshl_u32 v7, v3, v0, 0x3                    // scaleToBpe: accumulate d0 lower and *= bpe into Cin addr
v_cndmask_b32 v7, -1, v7, s[60:61]                 // LDD clip if OOB. offset
/* (d1,vc1,d0,vc0)=(1,1,1,0) */
_v_add_co_u32 v4, vcc, v0, 16                      // coord0.1: coord0 += d0*sg0*VW + vc0
v_cmp_lt_u32 s[56:57], v4, s[sgprSizeI]            // coord0 < size0
v_cmp_lt_u32 s[60:61], v1, s[sgprSizeJ]            // coord1 < size1
s_and_b64 s[60:61], s[56:57], s[60:61]             // in0 && in1
_v_add_lshl_u32 v12, v3, v4, 0x3                   // scaleToBpe: accumulate d0 lower and *= bpe into Cin addr
v_cndmask_b32 v12, -1, v12, s[60:61]               // LDD clip if OOB. offset
/* (d1,vc1,d0,vc0)=(1,1,2,0) */
_v_add_co_u32 v4, vcc, v0, 32                      // coord0.1: coord0 += d0*sg0*VW + vc0
v_cmp_lt_u32 s[56:57], v4, s[sgprSizeI]            // coord0 < size0
v_cmp_lt_u32 s[60:61], v1, s[sgprSizeJ]            // coord1 < size1
s_and_b64 s[60:61], s[56:57], s[60:61]             // in0 && in1
_v_add_lshl_u32 v13, v3, v4, 0x3                   // scaleToBpe: accumulate d0 lower and *= bpe into Cin addr
v_cndmask_b32 v13, -1, v13, s[60:61]               // LDD clip if OOB. offset
v_accvgpr_read_b32 v[vgprValuC+8], acc68 // copy acc to vreg[88]
v_accvgpr_read_b32 v[vgprValuC+9], acc140 // copy acc to vreg[89]
v_accvgpr_read_b32 v[vgprValuC+10], acc37 // copy acc to vreg[90]
v_accvgpr_read_b32 v[vgprValuC+11], acc109 // copy acc to vreg[91]
v_accvgpr_read_b32 v[vgprValuC+14], acc41 // copy acc to vreg[92]
v_accvgpr_read_b32 v[vgprValuC+15], acc113 // copy acc to vreg[93]
v_accvgpr_read_b32 v[vgprValuC+16], acc45 // copy acc to vreg[94]
v_accvgpr_read_b32 v[vgprValuC+17], acc117 // copy acc to vreg[95]
s_nop 1                                            // 2 wait states required before reading vgpr

/* rC *= alpha batchElements=[(1, 8, 0, 0), (1, 0, 1, 0), (1, 1, 1, 0), (1, 2, 1, 0)] */
v_mov_b32 v18, v[vgprValuC+8]                      // store Cr
v_mul_f32 v[vgprValuC+8], s[sgprAlpha], v[vgprValuC+8] // *= alpha ( Cr = Ar * Cr)
_v_mac_f32 v[vgprValuC+8], -s[sgprAlpha+1], v[vgprValuC+9] // *= alpha ( Cr += -Ai * Ci )
v_mul_f32 v[vgprValuC+9], s[sgprAlpha], v[vgprValuC+9] // *= alpha ( Ci = Ar * Ci)
_v_mac_f32 v[vgprValuC+9], s[sgprAlpha+1], v18     // *= alpha ( Ci += Ai * Cr_backup )
v_mov_b32 v18, v[vgprValuC+10]                     // store Cr
v_mul_f32 v[vgprValuC+10], s[sgprAlpha], v[vgprValuC+10] // *= alpha ( Cr = Ar * Cr)
_v_mac_f32 v[vgprValuC+10], -s[sgprAlpha+1], v[vgprValuC+11] // *= alpha ( Cr += -Ai * Ci )
v_mul_f32 v[vgprValuC+11], s[sgprAlpha], v[vgprValuC+11] // *= alpha ( Ci = Ar * Ci)
_v_mac_f32 v[vgprValuC+11], s[sgprAlpha+1], v18    // *= alpha ( Ci += Ai * Cr_backup )
v_mov_b32 v18, v[vgprValuC+14]                     // store Cr
v_mul_f32 v[vgprValuC+14], s[sgprAlpha], v[vgprValuC+14] // *= alpha ( Cr = Ar * Cr)
_v_mac_f32 v[vgprValuC+14], -s[sgprAlpha+1], v[vgprValuC+15] // *= alpha ( Cr += -Ai * Ci )
v_mul_f32 v[vgprValuC+15], s[sgprAlpha], v[vgprValuC+15] // *= alpha ( Ci = Ar * Ci)
_v_mac_f32 v[vgprValuC+15], s[sgprAlpha+1], v18    // *= alpha ( Ci += Ai * Cr_backup )
	;; [unrolled: 5-line block ×3, first 2 shown]

/* apply mask, calc new C and issue writes */
_buffer_store_b64 v[8:9], v6, s[sgprSrdD:sgprSrdD+3], 0, offen, offset:0,  nt // store D
_buffer_store_b64 v[10:11], v7, s[sgprSrdD:sgprSrdD+3], 0, offen, offset:0,  nt // store D
	;; [unrolled: 1-line block ×4, first 2 shown]
s_nop 0                                            // 1 wait state required when next inst writes vgprs held by previous dwordx4 store inst
/* optSingleColVgpr=0 optSharedColVgpr=0 optSGPRUsage=BufferLoad_Edge_Mask optSrdIncForRow=0 */
s_sleep 3 // optimization: sync and wait
s_barrier

/******************************************/
/* Global Write Alpha Edge Batch #12 (d1,d0,vc1,vc0) = */
/*    (1,3,1,0:vw1); (1,4,1,0:vw1); (1,5,1,0:vw1); (1,6,1,0:vw1) */
/******************************************/

/* calc coords, apply mask, and issue loads (if necessary) */
/* (d1,vc1,d0,vc0)=(1,1,3,0) */
_v_add_co_u32 v4, vcc, v0, 48                      // coord0.1: coord0 += d0*sg0*VW + vc0
v_cmp_lt_u32 s[56:57], v4, s[sgprSizeI]            // coord0 < size0
v_cmp_lt_u32 s[60:61], v1, s[sgprSizeJ]            // coord1 < size1
s_and_b64 s[60:61], s[56:57], s[60:61]             // in0 && in1
_v_add_lshl_u32 v6, v3, v4, 0x3                    // scaleToBpe: accumulate d0 lower and *= bpe into Cin addr
v_cndmask_b32 v6, -1, v6, s[60:61]                 // LDD clip if OOB. offset
/* (d1,vc1,d0,vc0)=(1,1,4,0) */
_v_add_co_u32 v4, vcc, v0, 64                      // coord0.1: coord0 += d0*sg0*VW + vc0
v_cmp_lt_u32 s[56:57], v4, s[sgprSizeI]            // coord0 < size0
v_cmp_lt_u32 s[60:61], v1, s[sgprSizeJ]            // coord1 < size1
s_and_b64 s[60:61], s[56:57], s[60:61]             // in0 && in1
_v_add_lshl_u32 v7, v3, v4, 0x3                    // scaleToBpe: accumulate d0 lower and *= bpe into Cin addr
v_cndmask_b32 v7, -1, v7, s[60:61]                 // LDD clip if OOB. offset
/* (d1,vc1,d0,vc0)=(1,1,5,0) */
s_mov_b32 s56, 80                                  // coordOffset0 d0=5 vc0=0
_v_add_co_u32 v4, vcc, v0, s56                     // coord0.2: coord0 += d0*sg0*VW + vc0
v_cmp_lt_u32 s[56:57], v4, s[sgprSizeI]            // coord0 < size0
v_cmp_lt_u32 s[60:61], v1, s[sgprSizeJ]            // coord1 < size1
s_and_b64 s[60:61], s[56:57], s[60:61]             // in0 && in1
_v_add_lshl_u32 v12, v3, v4, 0x3                   // scaleToBpe: accumulate d0 lower and *= bpe into Cin addr
v_cndmask_b32 v12, -1, v12, s[60:61]               // LDD clip if OOB. offset
/* (d1,vc1,d0,vc0)=(1,1,6,0) */
s_mov_b32 s56, 96                                  // coordOffset0 d0=6 vc0=0
_v_add_co_u32 v4, vcc, v0, s56                     // coord0.2: coord0 += d0*sg0*VW + vc0
v_cmp_lt_u32 s[56:57], v4, s[sgprSizeI]            // coord0 < size0
v_cmp_lt_u32 s[60:61], v1, s[sgprSizeJ]            // coord1 < size1
s_and_b64 s[60:61], s[56:57], s[60:61]             // in0 && in1
_v_add_lshl_u32 v13, v3, v4, 0x3                   // scaleToBpe: accumulate d0 lower and *= bpe into Cin addr
v_cndmask_b32 v13, -1, v13, s[60:61]               // LDD clip if OOB. offset
v_accvgpr_read_b32 v[vgprValuC+8], acc49 // copy acc to vreg[96]
v_accvgpr_read_b32 v[vgprValuC+9], acc121 // copy acc to vreg[97]
v_accvgpr_read_b32 v[vgprValuC+10], acc53 // copy acc to vreg[98]
v_accvgpr_read_b32 v[vgprValuC+11], acc125 // copy acc to vreg[99]
v_accvgpr_read_b32 v[vgprValuC+14], acc57 // copy acc to vreg[100]
v_accvgpr_read_b32 v[vgprValuC+15], acc129 // copy acc to vreg[101]
v_accvgpr_read_b32 v[vgprValuC+16], acc61 // copy acc to vreg[102]
v_accvgpr_read_b32 v[vgprValuC+17], acc133 // copy acc to vreg[103]
s_nop 1                                            // 2 wait states required before reading vgpr

/* rC *= alpha batchElements=[(1, 3, 1, 0), (1, 4, 1, 0), (1, 5, 1, 0), (1, 6, 1, 0)] */
v_mov_b32 v18, v[vgprValuC+8]                      // store Cr
v_mul_f32 v[vgprValuC+8], s[sgprAlpha], v[vgprValuC+8] // *= alpha ( Cr = Ar * Cr)
_v_mac_f32 v[vgprValuC+8], -s[sgprAlpha+1], v[vgprValuC+9] // *= alpha ( Cr += -Ai * Ci )
v_mul_f32 v[vgprValuC+9], s[sgprAlpha], v[vgprValuC+9] // *= alpha ( Ci = Ar * Ci)
_v_mac_f32 v[vgprValuC+9], s[sgprAlpha+1], v18     // *= alpha ( Ci += Ai * Cr_backup )
v_mov_b32 v18, v[vgprValuC+10]                     // store Cr
v_mul_f32 v[vgprValuC+10], s[sgprAlpha], v[vgprValuC+10] // *= alpha ( Cr = Ar * Cr)
_v_mac_f32 v[vgprValuC+10], -s[sgprAlpha+1], v[vgprValuC+11] // *= alpha ( Cr += -Ai * Ci )
v_mul_f32 v[vgprValuC+11], s[sgprAlpha], v[vgprValuC+11] // *= alpha ( Ci = Ar * Ci)
_v_mac_f32 v[vgprValuC+11], s[sgprAlpha+1], v18    // *= alpha ( Ci += Ai * Cr_backup )
v_mov_b32 v18, v[vgprValuC+14]                     // store Cr
v_mul_f32 v[vgprValuC+14], s[sgprAlpha], v[vgprValuC+14] // *= alpha ( Cr = Ar * Cr)
_v_mac_f32 v[vgprValuC+14], -s[sgprAlpha+1], v[vgprValuC+15] // *= alpha ( Cr += -Ai * Ci )
v_mul_f32 v[vgprValuC+15], s[sgprAlpha], v[vgprValuC+15] // *= alpha ( Ci = Ar * Ci)
_v_mac_f32 v[vgprValuC+15], s[sgprAlpha+1], v18    // *= alpha ( Ci += Ai * Cr_backup )
v_mov_b32 v18, v[vgprValuC+16]                     // store Cr
v_mul_f32 v[vgprValuC+16], s[sgprAlpha], v[vgprValuC+16] // *= alpha ( Cr = Ar * Cr)
_v_mac_f32 v[vgprValuC+16], -s[sgprAlpha+1], v[vgprValuC+17] // *= alpha ( Cr += -Ai * Ci )
v_mul_f32 v[vgprValuC+17], s[sgprAlpha], v[vgprValuC+17] // *= alpha ( Ci = Ar * Ci)
_v_mac_f32 v[vgprValuC+17], s[sgprAlpha+1], v18    // *= alpha ( Ci += Ai * Cr_backup )

/* apply mask, calc new C and issue writes */
_buffer_store_b64 v[8:9], v6, s[sgprSrdD:sgprSrdD+3], 0, offen, offset:0,  nt // store D
_buffer_store_b64 v[10:11], v7, s[sgprSrdD:sgprSrdD+3], 0, offen, offset:0,  nt // store D
	;; [unrolled: 1-line block ×4, first 2 shown]
s_nop 0                                            // 1 wait state required when next inst writes vgprs held by previous dwordx4 store inst
/* optSingleColVgpr=0 optSharedColVgpr=0 optSGPRUsage=BufferLoad_Edge_Mask optSrdIncForRow=0 */
s_sleep 3 // optimization: sync and wait
s_barrier

/******************************************/
/* Global Write Alpha Edge Batch #13 (d1,d0,vc1,vc0) = */
/*    (1,7,1,0:vw1); (1,8,1,0:vw1); (1,0,2,0:vw1); (1,1,2,0:vw1) */
/******************************************/

/* calc coords, apply mask, and issue loads (if necessary) */
/* (d1,vc1,d0,vc0)=(1,1,7,0) */
s_mov_b32 s56, 112                                 // coordOffset0 d0=7 vc0=0
_v_add_co_u32 v4, vcc, v0, s56                     // coord0.2: coord0 += d0*sg0*VW + vc0
v_cmp_lt_u32 s[56:57], v4, s[sgprSizeI]            // coord0 < size0
v_cmp_lt_u32 s[60:61], v1, s[sgprSizeJ]            // coord1 < size1
s_and_b64 s[60:61], s[56:57], s[60:61]             // in0 && in1
_v_add_lshl_u32 v6, v3, v4, 0x3                    // scaleToBpe: accumulate d0 lower and *= bpe into Cin addr
v_cndmask_b32 v6, -1, v6, s[60:61]                 // LDD clip if OOB. offset
/* (d1,vc1,d0,vc0)=(1,1,8,0) */
s_mov_b32 s56, 128                                 // coordOffset0 d0=8 vc0=0
_v_add_co_u32 v4, vcc, v0, s56                     // coord0.2: coord0 += d0*sg0*VW + vc0
v_cmp_lt_u32 s[56:57], v4, s[sgprSizeI]            // coord0 < size0
v_cmp_lt_u32 s[60:61], v1, s[sgprSizeJ]            // coord1 < size1
s_and_b64 s[60:61], s[56:57], s[60:61]             // in0 && in1
_v_add_lshl_u32 v7, v3, v4, 0x3                    // scaleToBpe: accumulate d0 lower and *= bpe into Cin addr
v_cndmask_b32 v7, -1, v7, s[60:61]                 // LDD clip if OOB. offset
/* (d1,vc1,d0,vc0)=(1,2,0,0) */
_v_add_co_u32 v1, vcc, v1, 1                       // coord1.1: coord1Vgpr += d1*sg1*VW + vc1

/* Fix for UseInitialStridesCD, emitAddressSetupCode */
_v_add_u32 v2, v2, s[sgprStrideC1J]                // ROWINC- Move cinRowPtr to next row
_v_add_u32 v3, v3, s[sgprStrideD1J]                // Move coutRowPtr to next row
v_cmp_lt_u32 s[56:57], v0, s[sgprSizeI]            // coord0 < size0
v_cmp_lt_u32 s[60:61], v1, s[sgprSizeJ]            // coord1 < size1
s_and_b64 s[60:61], s[56:57], s[60:61]             // in0 && in1
_v_add_lshl_u32 v12, v3, v0, 0x3                   // scaleToBpe: accumulate d0 lower and *= bpe into Cin addr
v_cndmask_b32 v12, -1, v12, s[60:61]               // LDD clip if OOB. offset
/* (d1,vc1,d0,vc0)=(1,2,1,0) */
_v_add_co_u32 v4, vcc, v0, 16                      // coord0.1: coord0 += d0*sg0*VW + vc0
v_cmp_lt_u32 s[56:57], v4, s[sgprSizeI]            // coord0 < size0
v_cmp_lt_u32 s[60:61], v1, s[sgprSizeJ]            // coord1 < size1
s_and_b64 s[60:61], s[56:57], s[60:61]             // in0 && in1
_v_add_lshl_u32 v13, v3, v4, 0x3                   // scaleToBpe: accumulate d0 lower and *= bpe into Cin addr
v_cndmask_b32 v13, -1, v13, s[60:61]               // LDD clip if OOB. offset
v_accvgpr_read_b32 v[vgprValuC+8], acc65 // copy acc to vreg[104]
v_accvgpr_read_b32 v[vgprValuC+9], acc137 // copy acc to vreg[105]
v_accvgpr_read_b32 v[vgprValuC+10], acc69 // copy acc to vreg[106]
v_accvgpr_read_b32 v[vgprValuC+11], acc141 // copy acc to vreg[107]
v_accvgpr_read_b32 v[vgprValuC+14], acc38 // copy acc to vreg[108]
v_accvgpr_read_b32 v[vgprValuC+15], acc110 // copy acc to vreg[109]
v_accvgpr_read_b32 v[vgprValuC+16], acc42 // copy acc to vreg[110]
v_accvgpr_read_b32 v[vgprValuC+17], acc114 // copy acc to vreg[111]
s_nop 1                                            // 2 wait states required before reading vgpr

/* rC *= alpha batchElements=[(1, 7, 1, 0), (1, 8, 1, 0), (1, 0, 2, 0), (1, 1, 2, 0)] */
v_mov_b32 v18, v[vgprValuC+8]                      // store Cr
v_mul_f32 v[vgprValuC+8], s[sgprAlpha], v[vgprValuC+8] // *= alpha ( Cr = Ar * Cr)
_v_mac_f32 v[vgprValuC+8], -s[sgprAlpha+1], v[vgprValuC+9] // *= alpha ( Cr += -Ai * Ci )
v_mul_f32 v[vgprValuC+9], s[sgprAlpha], v[vgprValuC+9] // *= alpha ( Ci = Ar * Ci)
_v_mac_f32 v[vgprValuC+9], s[sgprAlpha+1], v18     // *= alpha ( Ci += Ai * Cr_backup )
v_mov_b32 v18, v[vgprValuC+10]                     // store Cr
v_mul_f32 v[vgprValuC+10], s[sgprAlpha], v[vgprValuC+10] // *= alpha ( Cr = Ar * Cr)
_v_mac_f32 v[vgprValuC+10], -s[sgprAlpha+1], v[vgprValuC+11] // *= alpha ( Cr += -Ai * Ci )
v_mul_f32 v[vgprValuC+11], s[sgprAlpha], v[vgprValuC+11] // *= alpha ( Ci = Ar * Ci)
_v_mac_f32 v[vgprValuC+11], s[sgprAlpha+1], v18    // *= alpha ( Ci += Ai * Cr_backup )
v_mov_b32 v18, v[vgprValuC+14]                     // store Cr
v_mul_f32 v[vgprValuC+14], s[sgprAlpha], v[vgprValuC+14] // *= alpha ( Cr = Ar * Cr)
_v_mac_f32 v[vgprValuC+14], -s[sgprAlpha+1], v[vgprValuC+15] // *= alpha ( Cr += -Ai * Ci )
v_mul_f32 v[vgprValuC+15], s[sgprAlpha], v[vgprValuC+15] // *= alpha ( Ci = Ar * Ci)
_v_mac_f32 v[vgprValuC+15], s[sgprAlpha+1], v18    // *= alpha ( Ci += Ai * Cr_backup )
	;; [unrolled: 5-line block ×3, first 2 shown]

/* apply mask, calc new C and issue writes */
_buffer_store_b64 v[8:9], v6, s[sgprSrdD:sgprSrdD+3], 0, offen, offset:0,  nt // store D
_buffer_store_b64 v[10:11], v7, s[sgprSrdD:sgprSrdD+3], 0, offen, offset:0,  nt // store D
	;; [unrolled: 1-line block ×4, first 2 shown]
s_nop 0                                            // 1 wait state required when next inst writes vgprs held by previous dwordx4 store inst
/* optSingleColVgpr=0 optSharedColVgpr=0 optSGPRUsage=BufferLoad_Edge_Mask optSrdIncForRow=0 */
s_sleep 3 // optimization: sync and wait
s_barrier

/******************************************/
/* Global Write Alpha Edge Batch #14 (d1,d0,vc1,vc0) = */
/*    (1,2,2,0:vw1); (1,3,2,0:vw1); (1,4,2,0:vw1); (1,5,2,0:vw1) */
/******************************************/

/* calc coords, apply mask, and issue loads (if necessary) */
/* (d1,vc1,d0,vc0)=(1,2,2,0) */
_v_add_co_u32 v4, vcc, v0, 32                      // coord0.1: coord0 += d0*sg0*VW + vc0
v_cmp_lt_u32 s[56:57], v4, s[sgprSizeI]            // coord0 < size0
v_cmp_lt_u32 s[60:61], v1, s[sgprSizeJ]            // coord1 < size1
s_and_b64 s[60:61], s[56:57], s[60:61]             // in0 && in1
_v_add_lshl_u32 v6, v3, v4, 0x3                    // scaleToBpe: accumulate d0 lower and *= bpe into Cin addr
v_cndmask_b32 v6, -1, v6, s[60:61]                 // LDD clip if OOB. offset
/* (d1,vc1,d0,vc0)=(1,2,3,0) */
_v_add_co_u32 v4, vcc, v0, 48                      // coord0.1: coord0 += d0*sg0*VW + vc0
v_cmp_lt_u32 s[56:57], v4, s[sgprSizeI]            // coord0 < size0
v_cmp_lt_u32 s[60:61], v1, s[sgprSizeJ]            // coord1 < size1
s_and_b64 s[60:61], s[56:57], s[60:61]             // in0 && in1
_v_add_lshl_u32 v7, v3, v4, 0x3                    // scaleToBpe: accumulate d0 lower and *= bpe into Cin addr
v_cndmask_b32 v7, -1, v7, s[60:61]                 // LDD clip if OOB. offset
/* (d1,vc1,d0,vc0)=(1,2,4,0) */
_v_add_co_u32 v4, vcc, v0, 64                      // coord0.1: coord0 += d0*sg0*VW + vc0
v_cmp_lt_u32 s[56:57], v4, s[sgprSizeI]            // coord0 < size0
v_cmp_lt_u32 s[60:61], v1, s[sgprSizeJ]            // coord1 < size1
s_and_b64 s[60:61], s[56:57], s[60:61]             // in0 && in1
_v_add_lshl_u32 v12, v3, v4, 0x3                   // scaleToBpe: accumulate d0 lower and *= bpe into Cin addr
v_cndmask_b32 v12, -1, v12, s[60:61]               // LDD clip if OOB. offset
/* (d1,vc1,d0,vc0)=(1,2,5,0) */
s_mov_b32 s56, 80                                  // coordOffset0 d0=5 vc0=0
_v_add_co_u32 v4, vcc, v0, s56                     // coord0.2: coord0 += d0*sg0*VW + vc0
v_cmp_lt_u32 s[56:57], v4, s[sgprSizeI]            // coord0 < size0
v_cmp_lt_u32 s[60:61], v1, s[sgprSizeJ]            // coord1 < size1
s_and_b64 s[60:61], s[56:57], s[60:61]             // in0 && in1
_v_add_lshl_u32 v13, v3, v4, 0x3                   // scaleToBpe: accumulate d0 lower and *= bpe into Cin addr
v_cndmask_b32 v13, -1, v13, s[60:61]               // LDD clip if OOB. offset
v_accvgpr_read_b32 v[vgprValuC+8], acc46 // copy acc to vreg[112]
v_accvgpr_read_b32 v[vgprValuC+9], acc118 // copy acc to vreg[113]
v_accvgpr_read_b32 v[vgprValuC+10], acc50 // copy acc to vreg[114]
v_accvgpr_read_b32 v[vgprValuC+11], acc122 // copy acc to vreg[115]
v_accvgpr_read_b32 v[vgprValuC+14], acc54 // copy acc to vreg[116]
v_accvgpr_read_b32 v[vgprValuC+15], acc126 // copy acc to vreg[117]
v_accvgpr_read_b32 v[vgprValuC+16], acc58 // copy acc to vreg[118]
v_accvgpr_read_b32 v[vgprValuC+17], acc130 // copy acc to vreg[119]
s_nop 1                                            // 2 wait states required before reading vgpr

/* rC *= alpha batchElements=[(1, 2, 2, 0), (1, 3, 2, 0), (1, 4, 2, 0), (1, 5, 2, 0)] */
v_mov_b32 v18, v[vgprValuC+8]                      // store Cr
v_mul_f32 v[vgprValuC+8], s[sgprAlpha], v[vgprValuC+8] // *= alpha ( Cr = Ar * Cr)
_v_mac_f32 v[vgprValuC+8], -s[sgprAlpha+1], v[vgprValuC+9] // *= alpha ( Cr += -Ai * Ci )
v_mul_f32 v[vgprValuC+9], s[sgprAlpha], v[vgprValuC+9] // *= alpha ( Ci = Ar * Ci)
_v_mac_f32 v[vgprValuC+9], s[sgprAlpha+1], v18     // *= alpha ( Ci += Ai * Cr_backup )
v_mov_b32 v18, v[vgprValuC+10]                     // store Cr
v_mul_f32 v[vgprValuC+10], s[sgprAlpha], v[vgprValuC+10] // *= alpha ( Cr = Ar * Cr)
_v_mac_f32 v[vgprValuC+10], -s[sgprAlpha+1], v[vgprValuC+11] // *= alpha ( Cr += -Ai * Ci )
v_mul_f32 v[vgprValuC+11], s[sgprAlpha], v[vgprValuC+11] // *= alpha ( Ci = Ar * Ci)
_v_mac_f32 v[vgprValuC+11], s[sgprAlpha+1], v18    // *= alpha ( Ci += Ai * Cr_backup )
v_mov_b32 v18, v[vgprValuC+14]                     // store Cr
v_mul_f32 v[vgprValuC+14], s[sgprAlpha], v[vgprValuC+14] // *= alpha ( Cr = Ar * Cr)
_v_mac_f32 v[vgprValuC+14], -s[sgprAlpha+1], v[vgprValuC+15] // *= alpha ( Cr += -Ai * Ci )
v_mul_f32 v[vgprValuC+15], s[sgprAlpha], v[vgprValuC+15] // *= alpha ( Ci = Ar * Ci)
_v_mac_f32 v[vgprValuC+15], s[sgprAlpha+1], v18    // *= alpha ( Ci += Ai * Cr_backup )
	;; [unrolled: 5-line block ×3, first 2 shown]

/* apply mask, calc new C and issue writes */
_buffer_store_b64 v[8:9], v6, s[sgprSrdD:sgprSrdD+3], 0, offen, offset:0,  nt // store D
_buffer_store_b64 v[10:11], v7, s[sgprSrdD:sgprSrdD+3], 0, offen, offset:0,  nt // store D
	;; [unrolled: 1-line block ×4, first 2 shown]
s_nop 0                                            // 1 wait state required when next inst writes vgprs held by previous dwordx4 store inst
/* optSingleColVgpr=0 optSharedColVgpr=0 optSGPRUsage=BufferLoad_Edge_Mask optSrdIncForRow=0 */
s_sleep 3 // optimization: sync and wait
s_barrier

/******************************************/
/* Global Write Alpha Edge Batch #15 (d1,d0,vc1,vc0) = */
/*    (1,6,2,0:vw1); (1,7,2,0:vw1); (1,8,2,0:vw1); (1,0,3,0:vw1) */
/******************************************/

/* calc coords, apply mask, and issue loads (if necessary) */
/* (d1,vc1,d0,vc0)=(1,2,6,0) */
s_mov_b32 s56, 96                                  // coordOffset0 d0=6 vc0=0
_v_add_co_u32 v4, vcc, v0, s56                     // coord0.2: coord0 += d0*sg0*VW + vc0
v_cmp_lt_u32 s[56:57], v4, s[sgprSizeI]            // coord0 < size0
v_cmp_lt_u32 s[60:61], v1, s[sgprSizeJ]            // coord1 < size1
s_and_b64 s[60:61], s[56:57], s[60:61]             // in0 && in1
_v_add_lshl_u32 v6, v3, v4, 0x3                    // scaleToBpe: accumulate d0 lower and *= bpe into Cin addr
v_cndmask_b32 v6, -1, v6, s[60:61]                 // LDD clip if OOB. offset
/* (d1,vc1,d0,vc0)=(1,2,7,0) */
s_mov_b32 s56, 112                                 // coordOffset0 d0=7 vc0=0
_v_add_co_u32 v4, vcc, v0, s56                     // coord0.2: coord0 += d0*sg0*VW + vc0
v_cmp_lt_u32 s[56:57], v4, s[sgprSizeI]            // coord0 < size0
v_cmp_lt_u32 s[60:61], v1, s[sgprSizeJ]            // coord1 < size1
s_and_b64 s[60:61], s[56:57], s[60:61]             // in0 && in1
_v_add_lshl_u32 v7, v3, v4, 0x3                    // scaleToBpe: accumulate d0 lower and *= bpe into Cin addr
v_cndmask_b32 v7, -1, v7, s[60:61]                 // LDD clip if OOB. offset
/* (d1,vc1,d0,vc0)=(1,2,8,0) */
s_mov_b32 s56, 128                                 // coordOffset0 d0=8 vc0=0
_v_add_co_u32 v4, vcc, v0, s56                     // coord0.2: coord0 += d0*sg0*VW + vc0
v_cmp_lt_u32 s[56:57], v4, s[sgprSizeI]            // coord0 < size0
v_cmp_lt_u32 s[60:61], v1, s[sgprSizeJ]            // coord1 < size1
s_and_b64 s[60:61], s[56:57], s[60:61]             // in0 && in1
_v_add_lshl_u32 v12, v3, v4, 0x3                   // scaleToBpe: accumulate d0 lower and *= bpe into Cin addr
v_cndmask_b32 v12, -1, v12, s[60:61]               // LDD clip if OOB. offset
/* (d1,vc1,d0,vc0)=(1,3,0,0) */
_v_add_co_u32 v1, vcc, v1, 1                       // coord1.1: coord1Vgpr += d1*sg1*VW + vc1

/* Fix for UseInitialStridesCD, emitAddressSetupCode */
_v_add_u32 v2, v2, s[sgprStrideC1J]                // ROWINC- Move cinRowPtr to next row
_v_add_u32 v3, v3, s[sgprStrideD1J]                // Move coutRowPtr to next row
v_cmp_lt_u32 s[56:57], v0, s[sgprSizeI]            // coord0 < size0
v_cmp_lt_u32 s[60:61], v1, s[sgprSizeJ]            // coord1 < size1
s_and_b64 s[60:61], s[56:57], s[60:61]             // in0 && in1
_v_add_lshl_u32 v13, v3, v0, 0x3                   // scaleToBpe: accumulate d0 lower and *= bpe into Cin addr
v_cndmask_b32 v13, -1, v13, s[60:61]               // LDD clip if OOB. offset
v_accvgpr_read_b32 v[vgprValuC+8], acc62 // copy acc to vreg[120]
v_accvgpr_read_b32 v[vgprValuC+9], acc134 // copy acc to vreg[121]
v_accvgpr_read_b32 v[vgprValuC+10], acc66 // copy acc to vreg[122]
v_accvgpr_read_b32 v[vgprValuC+11], acc138 // copy acc to vreg[123]
v_accvgpr_read_b32 v[vgprValuC+14], acc70 // copy acc to vreg[124]
v_accvgpr_read_b32 v[vgprValuC+15], acc142 // copy acc to vreg[125]
v_accvgpr_read_b32 v[vgprValuC+16], acc39 // copy acc to vreg[126]
v_accvgpr_read_b32 v[vgprValuC+17], acc111 // copy acc to vreg[127]
s_nop 1                                            // 2 wait states required before reading vgpr

/* rC *= alpha batchElements=[(1, 6, 2, 0), (1, 7, 2, 0), (1, 8, 2, 0), (1, 0, 3, 0)] */
v_mov_b32 v18, v[vgprValuC+8]                      // store Cr
v_mul_f32 v[vgprValuC+8], s[sgprAlpha], v[vgprValuC+8] // *= alpha ( Cr = Ar * Cr)
_v_mac_f32 v[vgprValuC+8], -s[sgprAlpha+1], v[vgprValuC+9] // *= alpha ( Cr += -Ai * Ci )
v_mul_f32 v[vgprValuC+9], s[sgprAlpha], v[vgprValuC+9] // *= alpha ( Ci = Ar * Ci)
_v_mac_f32 v[vgprValuC+9], s[sgprAlpha+1], v18     // *= alpha ( Ci += Ai * Cr_backup )
v_mov_b32 v18, v[vgprValuC+10]                     // store Cr
v_mul_f32 v[vgprValuC+10], s[sgprAlpha], v[vgprValuC+10] // *= alpha ( Cr = Ar * Cr)
_v_mac_f32 v[vgprValuC+10], -s[sgprAlpha+1], v[vgprValuC+11] // *= alpha ( Cr += -Ai * Ci )
v_mul_f32 v[vgprValuC+11], s[sgprAlpha], v[vgprValuC+11] // *= alpha ( Ci = Ar * Ci)
_v_mac_f32 v[vgprValuC+11], s[sgprAlpha+1], v18    // *= alpha ( Ci += Ai * Cr_backup )
v_mov_b32 v18, v[vgprValuC+14]                     // store Cr
v_mul_f32 v[vgprValuC+14], s[sgprAlpha], v[vgprValuC+14] // *= alpha ( Cr = Ar * Cr)
_v_mac_f32 v[vgprValuC+14], -s[sgprAlpha+1], v[vgprValuC+15] // *= alpha ( Cr += -Ai * Ci )
v_mul_f32 v[vgprValuC+15], s[sgprAlpha], v[vgprValuC+15] // *= alpha ( Ci = Ar * Ci)
_v_mac_f32 v[vgprValuC+15], s[sgprAlpha+1], v18    // *= alpha ( Ci += Ai * Cr_backup )
	;; [unrolled: 5-line block ×3, first 2 shown]

/* apply mask, calc new C and issue writes */
_buffer_store_b64 v[8:9], v6, s[sgprSrdD:sgprSrdD+3], 0, offen, offset:0,  nt // store D
_buffer_store_b64 v[10:11], v7, s[sgprSrdD:sgprSrdD+3], 0, offen, offset:0,  nt // store D
	;; [unrolled: 1-line block ×4, first 2 shown]
s_nop 0                                            // 1 wait state required when next inst writes vgprs held by previous dwordx4 store inst
/* optSingleColVgpr=0 optSharedColVgpr=0 optSGPRUsage=BufferLoad_Edge_Mask optSrdIncForRow=0 */
s_sleep 3 // optimization: sync and wait
s_barrier

/******************************************/
/* Global Write Alpha Edge Batch #16 (d1,d0,vc1,vc0) = */
/*    (1,1,3,0:vw1); (1,2,3,0:vw1); (1,3,3,0:vw1); (1,4,3,0:vw1) */
/******************************************/

/* calc coords, apply mask, and issue loads (if necessary) */
/* (d1,vc1,d0,vc0)=(1,3,1,0) */
_v_add_co_u32 v4, vcc, v0, 16                      // coord0.1: coord0 += d0*sg0*VW + vc0
v_cmp_lt_u32 s[56:57], v4, s[sgprSizeI]            // coord0 < size0
v_cmp_lt_u32 s[60:61], v1, s[sgprSizeJ]            // coord1 < size1
s_and_b64 s[60:61], s[56:57], s[60:61]             // in0 && in1
_v_add_lshl_u32 v6, v3, v4, 0x3                    // scaleToBpe: accumulate d0 lower and *= bpe into Cin addr
v_cndmask_b32 v6, -1, v6, s[60:61]                 // LDD clip if OOB. offset
/* (d1,vc1,d0,vc0)=(1,3,2,0) */
_v_add_co_u32 v4, vcc, v0, 32                      // coord0.1: coord0 += d0*sg0*VW + vc0
v_cmp_lt_u32 s[56:57], v4, s[sgprSizeI]            // coord0 < size0
v_cmp_lt_u32 s[60:61], v1, s[sgprSizeJ]            // coord1 < size1
s_and_b64 s[60:61], s[56:57], s[60:61]             // in0 && in1
_v_add_lshl_u32 v7, v3, v4, 0x3                    // scaleToBpe: accumulate d0 lower and *= bpe into Cin addr
v_cndmask_b32 v7, -1, v7, s[60:61]                 // LDD clip if OOB. offset
/* (d1,vc1,d0,vc0)=(1,3,3,0) */
_v_add_co_u32 v4, vcc, v0, 48                      // coord0.1: coord0 += d0*sg0*VW + vc0
v_cmp_lt_u32 s[56:57], v4, s[sgprSizeI]            // coord0 < size0
v_cmp_lt_u32 s[60:61], v1, s[sgprSizeJ]            // coord1 < size1
s_and_b64 s[60:61], s[56:57], s[60:61]             // in0 && in1
_v_add_lshl_u32 v12, v3, v4, 0x3                   // scaleToBpe: accumulate d0 lower and *= bpe into Cin addr
v_cndmask_b32 v12, -1, v12, s[60:61]               // LDD clip if OOB. offset
/* (d1,vc1,d0,vc0)=(1,3,4,0) */
_v_add_co_u32 v4, vcc, v0, 64                      // coord0.1: coord0 += d0*sg0*VW + vc0
v_cmp_lt_u32 s[56:57], v4, s[sgprSizeI]            // coord0 < size0
v_cmp_lt_u32 s[60:61], v1, s[sgprSizeJ]            // coord1 < size1
s_and_b64 s[60:61], s[56:57], s[60:61]             // in0 && in1
_v_add_lshl_u32 v13, v3, v4, 0x3                   // scaleToBpe: accumulate d0 lower and *= bpe into Cin addr
v_cndmask_b32 v13, -1, v13, s[60:61]               // LDD clip if OOB. offset
v_accvgpr_read_b32 v[vgprValuC+8], acc43 // copy acc to vreg[128]
v_accvgpr_read_b32 v[vgprValuC+9], acc115 // copy acc to vreg[129]
v_accvgpr_read_b32 v[vgprValuC+10], acc47 // copy acc to vreg[130]
v_accvgpr_read_b32 v[vgprValuC+11], acc119 // copy acc to vreg[131]
v_accvgpr_read_b32 v[vgprValuC+14], acc51 // copy acc to vreg[132]
v_accvgpr_read_b32 v[vgprValuC+15], acc123 // copy acc to vreg[133]
v_accvgpr_read_b32 v[vgprValuC+16], acc55 // copy acc to vreg[134]
v_accvgpr_read_b32 v[vgprValuC+17], acc127 // copy acc to vreg[135]
s_nop 1                                            // 2 wait states required before reading vgpr

/* rC *= alpha batchElements=[(1, 1, 3, 0), (1, 2, 3, 0), (1, 3, 3, 0), (1, 4, 3, 0)] */
v_mov_b32 v18, v[vgprValuC+8]                      // store Cr
v_mul_f32 v[vgprValuC+8], s[sgprAlpha], v[vgprValuC+8] // *= alpha ( Cr = Ar * Cr)
_v_mac_f32 v[vgprValuC+8], -s[sgprAlpha+1], v[vgprValuC+9] // *= alpha ( Cr += -Ai * Ci )
v_mul_f32 v[vgprValuC+9], s[sgprAlpha], v[vgprValuC+9] // *= alpha ( Ci = Ar * Ci)
_v_mac_f32 v[vgprValuC+9], s[sgprAlpha+1], v18     // *= alpha ( Ci += Ai * Cr_backup )
v_mov_b32 v18, v[vgprValuC+10]                     // store Cr
v_mul_f32 v[vgprValuC+10], s[sgprAlpha], v[vgprValuC+10] // *= alpha ( Cr = Ar * Cr)
_v_mac_f32 v[vgprValuC+10], -s[sgprAlpha+1], v[vgprValuC+11] // *= alpha ( Cr += -Ai * Ci )
v_mul_f32 v[vgprValuC+11], s[sgprAlpha], v[vgprValuC+11] // *= alpha ( Ci = Ar * Ci)
_v_mac_f32 v[vgprValuC+11], s[sgprAlpha+1], v18    // *= alpha ( Ci += Ai * Cr_backup )
v_mov_b32 v18, v[vgprValuC+14]                     // store Cr
v_mul_f32 v[vgprValuC+14], s[sgprAlpha], v[vgprValuC+14] // *= alpha ( Cr = Ar * Cr)
_v_mac_f32 v[vgprValuC+14], -s[sgprAlpha+1], v[vgprValuC+15] // *= alpha ( Cr += -Ai * Ci )
v_mul_f32 v[vgprValuC+15], s[sgprAlpha], v[vgprValuC+15] // *= alpha ( Ci = Ar * Ci)
_v_mac_f32 v[vgprValuC+15], s[sgprAlpha+1], v18    // *= alpha ( Ci += Ai * Cr_backup )
v_mov_b32 v18, v[vgprValuC+16]                     // store Cr
v_mul_f32 v[vgprValuC+16], s[sgprAlpha], v[vgprValuC+16] // *= alpha ( Cr = Ar * Cr)
_v_mac_f32 v[vgprValuC+16], -s[sgprAlpha+1], v[vgprValuC+17] // *= alpha ( Cr += -Ai * Ci )
v_mul_f32 v[vgprValuC+17], s[sgprAlpha], v[vgprValuC+17] // *= alpha ( Ci = Ar * Ci)
_v_mac_f32 v[vgprValuC+17], s[sgprAlpha+1], v18    // *= alpha ( Ci += Ai * Cr_backup )

/* apply mask, calc new C and issue writes */
_buffer_store_b64 v[8:9], v6, s[sgprSrdD:sgprSrdD+3], 0, offen, offset:0,  nt // store D
_buffer_store_b64 v[10:11], v7, s[sgprSrdD:sgprSrdD+3], 0, offen, offset:0,  nt // store D
	;; [unrolled: 1-line block ×4, first 2 shown]
s_nop 0                                            // 1 wait state required when next inst writes vgprs held by previous dwordx4 store inst
/* optSingleColVgpr=0 optSharedColVgpr=0 optSGPRUsage=BufferLoad_Edge_Mask optSrdIncForRow=0 */
s_sleep 3 // optimization: sync and wait
s_barrier

/******************************************/
/* Global Write Alpha Edge Batch #17 (d1,d0,vc1,vc0) = */
/*    (1,5,3,0:vw1); (1,6,3,0:vw1); (1,7,3,0:vw1); (1,8,3,0:vw1) */
/******************************************/

/* calc coords, apply mask, and issue loads (if necessary) */
/* (d1,vc1,d0,vc0)=(1,3,5,0) */
s_mov_b32 s56, 80                                  // coordOffset0 d0=5 vc0=0
_v_add_co_u32 v4, vcc, v0, s56                     // coord0.2: coord0 += d0*sg0*VW + vc0
v_cmp_lt_u32 s[56:57], v4, s[sgprSizeI]            // coord0 < size0
v_cmp_lt_u32 s[60:61], v1, s[sgprSizeJ]            // coord1 < size1
s_and_b64 s[60:61], s[56:57], s[60:61]             // in0 && in1
_v_add_lshl_u32 v6, v3, v4, 0x3                    // scaleToBpe: accumulate d0 lower and *= bpe into Cin addr
v_cndmask_b32 v6, -1, v6, s[60:61]                 // LDD clip if OOB. offset
/* (d1,vc1,d0,vc0)=(1,3,6,0) */
s_mov_b32 s56, 96                                  // coordOffset0 d0=6 vc0=0
_v_add_co_u32 v4, vcc, v0, s56                     // coord0.2: coord0 += d0*sg0*VW + vc0
v_cmp_lt_u32 s[56:57], v4, s[sgprSizeI]            // coord0 < size0
v_cmp_lt_u32 s[60:61], v1, s[sgprSizeJ]            // coord1 < size1
s_and_b64 s[60:61], s[56:57], s[60:61]             // in0 && in1
_v_add_lshl_u32 v7, v3, v4, 0x3                    // scaleToBpe: accumulate d0 lower and *= bpe into Cin addr
v_cndmask_b32 v7, -1, v7, s[60:61]                 // LDD clip if OOB. offset
/* (d1,vc1,d0,vc0)=(1,3,7,0) */
s_mov_b32 s56, 112                                 // coordOffset0 d0=7 vc0=0
_v_add_co_u32 v4, vcc, v0, s56                     // coord0.2: coord0 += d0*sg0*VW + vc0
v_cmp_lt_u32 s[56:57], v4, s[sgprSizeI]            // coord0 < size0
v_cmp_lt_u32 s[60:61], v1, s[sgprSizeJ]            // coord1 < size1
s_and_b64 s[60:61], s[56:57], s[60:61]             // in0 && in1
_v_add_lshl_u32 v12, v3, v4, 0x3                   // scaleToBpe: accumulate d0 lower and *= bpe into Cin addr
v_cndmask_b32 v12, -1, v12, s[60:61]               // LDD clip if OOB. offset
/* (d1,vc1,d0,vc0)=(1,3,8,0) */
s_mov_b32 s56, 128                                 // coordOffset0 d0=8 vc0=0
_v_add_co_u32 v4, vcc, v0, s56                     // coord0.2: coord0 += d0*sg0*VW + vc0
v_cmp_lt_u32 s[56:57], v4, s[sgprSizeI]            // coord0 < size0
v_cmp_lt_u32 s[60:61], v1, s[sgprSizeJ]            // coord1 < size1
s_and_b64 s[60:61], s[56:57], s[60:61]             // in0 && in1
_v_add_lshl_u32 v13, v3, v4, 0x3                   // scaleToBpe: accumulate d0 lower and *= bpe into Cin addr
v_cndmask_b32 v13, -1, v13, s[60:61]               // LDD clip if OOB. offset
v_accvgpr_read_b32 v[vgprValuC+8], acc59 // copy acc to vreg[136]
v_accvgpr_read_b32 v[vgprValuC+9], acc131 // copy acc to vreg[137]
v_accvgpr_read_b32 v[vgprValuC+10], acc63 // copy acc to vreg[138]
v_accvgpr_read_b32 v[vgprValuC+11], acc135 // copy acc to vreg[139]
v_accvgpr_read_b32 v[vgprValuC+14], acc67 // copy acc to vreg[140]
v_accvgpr_read_b32 v[vgprValuC+15], acc139 // copy acc to vreg[141]
v_accvgpr_read_b32 v[vgprValuC+16], acc71 // copy acc to vreg[142]
v_accvgpr_read_b32 v[vgprValuC+17], acc143 // copy acc to vreg[143]
s_nop 1                                            // 2 wait states required before reading vgpr

/* rC *= alpha batchElements=[(1, 5, 3, 0), (1, 6, 3, 0), (1, 7, 3, 0), (1, 8, 3, 0)] */
v_mov_b32 v18, v[vgprValuC+8]                      // store Cr
v_mul_f32 v[vgprValuC+8], s[sgprAlpha], v[vgprValuC+8] // *= alpha ( Cr = Ar * Cr)
_v_mac_f32 v[vgprValuC+8], -s[sgprAlpha+1], v[vgprValuC+9] // *= alpha ( Cr += -Ai * Ci )
v_mul_f32 v[vgprValuC+9], s[sgprAlpha], v[vgprValuC+9] // *= alpha ( Ci = Ar * Ci)
_v_mac_f32 v[vgprValuC+9], s[sgprAlpha+1], v18     // *= alpha ( Ci += Ai * Cr_backup )
v_mov_b32 v18, v[vgprValuC+10]                     // store Cr
v_mul_f32 v[vgprValuC+10], s[sgprAlpha], v[vgprValuC+10] // *= alpha ( Cr = Ar * Cr)
_v_mac_f32 v[vgprValuC+10], -s[sgprAlpha+1], v[vgprValuC+11] // *= alpha ( Cr += -Ai * Ci )
v_mul_f32 v[vgprValuC+11], s[sgprAlpha], v[vgprValuC+11] // *= alpha ( Ci = Ar * Ci)
_v_mac_f32 v[vgprValuC+11], s[sgprAlpha+1], v18    // *= alpha ( Ci += Ai * Cr_backup )
v_mov_b32 v18, v[vgprValuC+14]                     // store Cr
v_mul_f32 v[vgprValuC+14], s[sgprAlpha], v[vgprValuC+14] // *= alpha ( Cr = Ar * Cr)
_v_mac_f32 v[vgprValuC+14], -s[sgprAlpha+1], v[vgprValuC+15] // *= alpha ( Cr += -Ai * Ci )
v_mul_f32 v[vgprValuC+15], s[sgprAlpha], v[vgprValuC+15] // *= alpha ( Ci = Ar * Ci)
_v_mac_f32 v[vgprValuC+15], s[sgprAlpha+1], v18    // *= alpha ( Ci += Ai * Cr_backup )
v_mov_b32 v18, v[vgprValuC+16]                     // store Cr
v_mul_f32 v[vgprValuC+16], s[sgprAlpha], v[vgprValuC+16] // *= alpha ( Cr = Ar * Cr)
_v_mac_f32 v[vgprValuC+16], -s[sgprAlpha+1], v[vgprValuC+17] // *= alpha ( Cr += -Ai * Ci )
v_mul_f32 v[vgprValuC+17], s[sgprAlpha], v[vgprValuC+17] // *= alpha ( Ci = Ar * Ci)
_v_mac_f32 v[vgprValuC+17], s[sgprAlpha+1], v18    // *= alpha ( Ci += Ai * Cr_backup )

/* apply mask, calc new C and issue writes */
_buffer_store_b64 v[8:9], v6, s[sgprSrdD:sgprSrdD+3], 0, offen, offset:0,  nt // store D
_buffer_store_b64 v[10:11], v7, s[sgprSrdD:sgprSrdD+3], 0, offen, offset:0,  nt // store D
	;; [unrolled: 1-line block ×4, first 2 shown]
s_nop 0                                            // 1 wait state required when next inst writes vgprs held by previous dwordx4 store inst
s_branch label_GW_End_44                           // jump to end
GW_Beta_45:
s_mov_b32 s59, 0x0                                 // STATIC_DIV: divisior=144
s_mul_i32 s58, 0x38e, s[sgprSizeI]                 // tmp1 = dividend * magic hi
s_lshl_b64 s[58:59], s[58:59], 0x10                // left shift 16 bits
s_mul_i32 s57, s[sgprSizeI], 0x38e4                // tmp0 = dividend * magic lo
s_add_u32 s58, s57, s58                            // add lo
s_addc_u32 s59, s59, 0x0                           // add hi
s_lshr_b64 s[58:59], s[58:59], 0x21                // tmp1 = (dividend * magic) << shift
s_mov_b32 s57, s58                                 // quotient
s_mul_i32 s58, s57, 0x90                           // quotient*divisor
s_sub_u32 s56, s[sgprSizeI], s58                   // rReg = dividend - quotient*divisor
s_add_u32 s57, -0x1, s[sgprNumWorkGroups0]         // 
s_cmp_ge_u32 s[sgprWorkGroup0], s57                // wg0 >= nwg0-1 ?
s_cselect_b32 s56, s56, 0                          // set rMT0
s_cmpk_gt_u32 s56, 0x0                             // rMT0 > 0
s_cbranch_scc1 GW_B1_E1_43                         // jump if edges required
s_and_b32 s56, 127, s[sgprSizeJ]                   // s56 = s[sgprSizeJ] % 128
s_add_u32 s57, -0x1, s[sgprNumWorkGroups1]         // 
s_cmp_ge_u32 s[sgprWorkGroup1], s57                // wg1 >= nwg1-1
s_cselect_b32 s56, s56, 0                          // set rMT1
s_cmpk_gt_u32 s56, 0x0                             // rMT1 > 0
s_cbranch_scc1 GW_B1_E1_43                         // jump if edges required
GW_B1_E0_40:

/* edge=0, allocate 2 sgpr. perBatchTmpS=2 perBatchMaskS=0 perElementMaskS=0 elementsPerBatch=4 */
/* optSingleColVgpr=1 optSharedColVgpr=0 optSGPRUsage=BufferLoad_Mask optSrdIncForRow=1 */
s_sleep 3 // optimization: sync and wait
s_barrier

/******************************************/
/* Global Write Alpha Beta Batch #0 (d1,d0,vc1,vc0) = */
/*    (0,0,0,0:vw1); (0,1,0,0:vw1); (0,2,0,0:vw1); (0,3,0,0:vw1) */
/******************************************/

/* calc coords, apply mask, and issue loads (if necessary) */
/* (d1,vc1,d0,vc0)=(0,0,0,0) */
_v_add_lshl_u32 v7, v2, v0, 0x3                    // optSingleColVgpr scaleToBpe: sharedAddrVgpr <- cinRowPtr + coord0, scaled by BPE. BSHERE:coord0=0, coord0Vgpr=0
_buffer_load_b64 v[8:9], v7, s[sgprSrdC:sgprSrdC+3], 0, offen offset:0,  nt // load C for beta calc
/* (d1,vc1,d0,vc0)=(0,0,1,0) */
_buffer_load_b64 v[12:13], v7, s[sgprSrdC:sgprSrdC+3], 0, offen offset:128,  nt // load C for beta calc
/* (d1,vc1,d0,vc0)=(0,0,2,0) */
	;; [unrolled: 2-line block ×3, first 2 shown]
_buffer_load_b64 v[20:21], v7, s[sgprSrdC:sgprSrdC+3], 0, offen offset:384,  nt // load C for beta calc
_v_add_lshl_u32 v6, v3, v0, 0x3                    // optSingleColVgpr scaleToBpe: sharedAddrVgpr <- cinRowPtr + coord0, scaled by BPE. BSHERE:coord0=0, coord0Vgpr=0
s_sleep 3 // optimization: sync and wait
s_barrier
v_accvgpr_read_b32 v[vgprValuC+10], acc0 // copy acc to vreg[0]
v_accvgpr_read_b32 v[vgprValuC+11], acc72 // copy acc to vreg[1]
v_accvgpr_read_b32 v[vgprValuC+14], acc4 // copy acc to vreg[2]
v_accvgpr_read_b32 v[vgprValuC+15], acc76 // copy acc to vreg[3]
v_accvgpr_read_b32 v[vgprValuC+18], acc8 // copy acc to vreg[4]
v_accvgpr_read_b32 v[vgprValuC+19], acc80 // copy acc to vreg[5]
v_accvgpr_read_b32 v[vgprValuC+22], acc12 // copy acc to vreg[6]
v_accvgpr_read_b32 v[vgprValuC+23], acc84 // copy acc to vreg[7]
s_nop 1                                            // 2 wait states required before reading vgpr

/* rC *= alpha batchElements=[(0, 0, 0, 0), (0, 1, 0, 0), (0, 2, 0, 0), (0, 3, 0, 0)] */
v_mov_b32 v24, v[vgprValuC+10]                     // store Cr
v_mul_f32 v[vgprValuC+10], s[sgprAlpha], v[vgprValuC+10] // *= alpha ( Cr = Ar * Cr)
_v_mac_f32 v[vgprValuC+10], -s[sgprAlpha+1], v[vgprValuC+11] // *= alpha ( Cr += -Ai * Ci )
v_mul_f32 v[vgprValuC+11], s[sgprAlpha], v[vgprValuC+11] // *= alpha ( Ci = Ar * Ci)
_v_mac_f32 v[vgprValuC+11], s[sgprAlpha+1], v24    // *= alpha ( Ci += Ai * Cr_backup )
v_mov_b32 v24, v[vgprValuC+14]                     // store Cr
v_mul_f32 v[vgprValuC+14], s[sgprAlpha], v[vgprValuC+14] // *= alpha ( Cr = Ar * Cr)
_v_mac_f32 v[vgprValuC+14], -s[sgprAlpha+1], v[vgprValuC+15] // *= alpha ( Cr += -Ai * Ci )
v_mul_f32 v[vgprValuC+15], s[sgprAlpha], v[vgprValuC+15] // *= alpha ( Ci = Ar * Ci)
_v_mac_f32 v[vgprValuC+15], s[sgprAlpha+1], v24    // *= alpha ( Ci += Ai * Cr_backup )
	;; [unrolled: 5-line block ×4, first 2 shown]

/* apply mask, calc new C and issue writes */

s_waitcnt vmcnt(3)                                 // wait C (interleaved) 3 = 4 - 0 + 0 - 1
_v_mac_f32 v[vgprValuC+10], v8, s[sgprBeta]        // finalSum Cr += old Cr * Br
_v_mac_f32 v[vgprValuC+10], v9, -s[sgprBeta+1]     // finalSum Cr += old Ci * -Bi
_v_mac_f32 v[vgprValuC+11], v9, s[sgprBeta]        // finalSum Ci += old Ci * Br
_v_mac_f32 v[vgprValuC+11], v8, s[sgprBeta+1]      // finalSum Ci += old Cr * Bi
_buffer_store_b64 v[10:11], v6, s[sgprSrdD:sgprSrdD+3], 0, offen, offset:0,  nt // store D

s_waitcnt vmcnt(3)                                 // wait C (interleaved) 3 = 4 - 1 + 1 - 1
_v_mac_f32 v[vgprValuC+14], v12, s[sgprBeta]       // finalSum Cr += old Cr * Br
_v_mac_f32 v[vgprValuC+14], v13, -s[sgprBeta+1]    // finalSum Cr += old Ci * -Bi
_v_mac_f32 v[vgprValuC+15], v13, s[sgprBeta]       // finalSum Ci += old Ci * Br
_v_mac_f32 v[vgprValuC+15], v12, s[sgprBeta+1]     // finalSum Ci += old Cr * Bi
_buffer_store_b64 v[14:15], v6, s[sgprSrdD:sgprSrdD+3], 0, offen, offset:128,  nt // store D

s_waitcnt vmcnt(3)                                 // wait C (interleaved) 3 = 4 - 2 + 2 - 1
_v_mac_f32 v[vgprValuC+18], v16, s[sgprBeta]       // finalSum Cr += old Cr * Br
_v_mac_f32 v[vgprValuC+18], v17, -s[sgprBeta+1]    // finalSum Cr += old Ci * -Bi
_v_mac_f32 v[vgprValuC+19], v17, s[sgprBeta]       // finalSum Ci += old Ci * Br
_v_mac_f32 v[vgprValuC+19], v16, s[sgprBeta+1]     // finalSum Ci += old Cr * Bi
	;; [unrolled: 7-line block ×3, first 2 shown]
_buffer_store_b64 v[22:23], v6, s[sgprSrdD:sgprSrdD+3], 0, offen, offset:384,  nt // store D
s_nop 0                                            // 1 wait state required when next inst writes vgprs held by previous dwordx4 store inst
/* optSingleColVgpr=1 optSharedColVgpr=0 optSGPRUsage=BufferLoad_Mask optSrdIncForRow=1 */
s_sleep 3 // optimization: sync and wait
s_barrier

/******************************************/
/* Global Write Alpha Beta Batch #1 (d1,d0,vc1,vc0) = */
/*    (0,4,0,0:vw1); (0,5,0,0:vw1); (0,6,0,0:vw1); (0,7,0,0:vw1) */
/******************************************/

/* calc coords, apply mask, and issue loads (if necessary) */
/* (d1,vc1,d0,vc0)=(0,0,4,0) */
_buffer_load_b64 v[8:9], v7, s[sgprSrdC:sgprSrdC+3], 0, offen offset:512,  nt // load C for beta calc
/* (d1,vc1,d0,vc0)=(0,0,5,0) */
_buffer_load_b64 v[12:13], v7, s[sgprSrdC:sgprSrdC+3], 0, offen offset:640,  nt // load C for beta calc
	;; [unrolled: 2-line block ×4, first 2 shown]
s_sleep 3 // optimization: sync and wait
s_barrier
v_accvgpr_read_b32 v[vgprValuC+10], acc16 // copy acc to vreg[8]
v_accvgpr_read_b32 v[vgprValuC+11], acc88 // copy acc to vreg[9]
v_accvgpr_read_b32 v[vgprValuC+14], acc20 // copy acc to vreg[10]
v_accvgpr_read_b32 v[vgprValuC+15], acc92 // copy acc to vreg[11]
v_accvgpr_read_b32 v[vgprValuC+18], acc24 // copy acc to vreg[12]
v_accvgpr_read_b32 v[vgprValuC+19], acc96 // copy acc to vreg[13]
v_accvgpr_read_b32 v[vgprValuC+22], acc28 // copy acc to vreg[14]
v_accvgpr_read_b32 v[vgprValuC+23], acc100 // copy acc to vreg[15]
s_nop 1                                            // 2 wait states required before reading vgpr

/* rC *= alpha batchElements=[(0, 4, 0, 0), (0, 5, 0, 0), (0, 6, 0, 0), (0, 7, 0, 0)] */
v_mov_b32 v24, v[vgprValuC+10]                     // store Cr
v_mul_f32 v[vgprValuC+10], s[sgprAlpha], v[vgprValuC+10] // *= alpha ( Cr = Ar * Cr)
_v_mac_f32 v[vgprValuC+10], -s[sgprAlpha+1], v[vgprValuC+11] // *= alpha ( Cr += -Ai * Ci )
v_mul_f32 v[vgprValuC+11], s[sgprAlpha], v[vgprValuC+11] // *= alpha ( Ci = Ar * Ci)
_v_mac_f32 v[vgprValuC+11], s[sgprAlpha+1], v24    // *= alpha ( Ci += Ai * Cr_backup )
v_mov_b32 v24, v[vgprValuC+14]                     // store Cr
v_mul_f32 v[vgprValuC+14], s[sgprAlpha], v[vgprValuC+14] // *= alpha ( Cr = Ar * Cr)
_v_mac_f32 v[vgprValuC+14], -s[sgprAlpha+1], v[vgprValuC+15] // *= alpha ( Cr += -Ai * Ci )
v_mul_f32 v[vgprValuC+15], s[sgprAlpha], v[vgprValuC+15] // *= alpha ( Ci = Ar * Ci)
_v_mac_f32 v[vgprValuC+15], s[sgprAlpha+1], v24    // *= alpha ( Ci += Ai * Cr_backup )
	;; [unrolled: 5-line block ×4, first 2 shown]

/* apply mask, calc new C and issue writes */

s_waitcnt vmcnt(3)                                 // wait C (interleaved) 3 = 4 - 0 + 0 - 1
_v_mac_f32 v[vgprValuC+10], v8, s[sgprBeta]        // finalSum Cr += old Cr * Br
_v_mac_f32 v[vgprValuC+10], v9, -s[sgprBeta+1]     // finalSum Cr += old Ci * -Bi
_v_mac_f32 v[vgprValuC+11], v9, s[sgprBeta]        // finalSum Ci += old Ci * Br
_v_mac_f32 v[vgprValuC+11], v8, s[sgprBeta+1]      // finalSum Ci += old Cr * Bi
_buffer_store_b64 v[10:11], v6, s[sgprSrdD:sgprSrdD+3], 0, offen, offset:512,  nt // store D

s_waitcnt vmcnt(3)                                 // wait C (interleaved) 3 = 4 - 1 + 1 - 1
_v_mac_f32 v[vgprValuC+14], v12, s[sgprBeta]       // finalSum Cr += old Cr * Br
_v_mac_f32 v[vgprValuC+14], v13, -s[sgprBeta+1]    // finalSum Cr += old Ci * -Bi
_v_mac_f32 v[vgprValuC+15], v13, s[sgprBeta]       // finalSum Ci += old Ci * Br
_v_mac_f32 v[vgprValuC+15], v12, s[sgprBeta+1]     // finalSum Ci += old Cr * Bi
_buffer_store_b64 v[14:15], v6, s[sgprSrdD:sgprSrdD+3], 0, offen, offset:640,  nt // store D

s_waitcnt vmcnt(3)                                 // wait C (interleaved) 3 = 4 - 2 + 2 - 1
_v_mac_f32 v[vgprValuC+18], v16, s[sgprBeta]       // finalSum Cr += old Cr * Br
_v_mac_f32 v[vgprValuC+18], v17, -s[sgprBeta+1]    // finalSum Cr += old Ci * -Bi
_v_mac_f32 v[vgprValuC+19], v17, s[sgprBeta]       // finalSum Ci += old Ci * Br
_v_mac_f32 v[vgprValuC+19], v16, s[sgprBeta+1]     // finalSum Ci += old Cr * Bi
	;; [unrolled: 7-line block ×3, first 2 shown]
_buffer_store_b64 v[22:23], v6, s[sgprSrdD:sgprSrdD+3], 0, offen, offset:896,  nt // store D
s_nop 0                                            // 1 wait state required when next inst writes vgprs held by previous dwordx4 store inst
/* optSingleColVgpr=1 optSharedColVgpr=0 optSGPRUsage=BufferLoad_Mask optSrdIncForRow=1 */
s_sleep 3 // optimization: sync and wait
s_barrier

/******************************************/
/* Global Write Alpha Beta Batch #2 (d1,d0,vc1,vc0) = */
/*    (0,8,0,0:vw1); (0,0,1,0:vw1); (0,1,1,0:vw1); (0,2,1,0:vw1) */
/******************************************/

/* calc coords, apply mask, and issue loads (if necessary) */
/* (d1,vc1,d0,vc0)=(0,0,8,0) */
_buffer_load_b64 v[8:9], v7, s[sgprSrdC:sgprSrdC+3], 0, offen offset:1024,  nt // load C for beta calc
/* (d1,vc1,d0,vc0)=(0,1,0,0) */
s_lshl_b32  s56, s[sgprStrideC1J], 3               // incToNextRow: Scale by BPE
s_add_u32  s[sgprSrdC+0], s[sgprSrdC+0], s56       // incToNextRow: gra SRD += inc(lower)
s_addc_u32  s[sgprSrdC+1], s[sgprSrdC+1], 0        // incToNextRow: gra SRD += inc(upper)
_buffer_load_b64 v[12:13], v7, s[sgprSrdC:sgprSrdC+3], 0, offen offset:0,  nt // load C for beta calc
/* (d1,vc1,d0,vc0)=(0,1,1,0) */
_buffer_load_b64 v[16:17], v7, s[sgprSrdC:sgprSrdC+3], 0, offen offset:128,  nt // load C for beta calc
/* (d1,vc1,d0,vc0)=(0,1,2,0) */
_buffer_load_b64 v[20:21], v7, s[sgprSrdC:sgprSrdC+3], 0, offen offset:256,  nt // load C for beta calc
s_sleep 3 // optimization: sync and wait
s_barrier
v_accvgpr_read_b32 v[vgprValuC+10], acc32 // copy acc to vreg[16]
v_accvgpr_read_b32 v[vgprValuC+11], acc104 // copy acc to vreg[17]
v_accvgpr_read_b32 v[vgprValuC+14], acc1 // copy acc to vreg[18]
v_accvgpr_read_b32 v[vgprValuC+15], acc73 // copy acc to vreg[19]
v_accvgpr_read_b32 v[vgprValuC+18], acc5 // copy acc to vreg[20]
v_accvgpr_read_b32 v[vgprValuC+19], acc77 // copy acc to vreg[21]
v_accvgpr_read_b32 v[vgprValuC+22], acc9 // copy acc to vreg[22]
v_accvgpr_read_b32 v[vgprValuC+23], acc81 // copy acc to vreg[23]
s_nop 1                                            // 2 wait states required before reading vgpr

/* rC *= alpha batchElements=[(0, 8, 0, 0), (0, 0, 1, 0), (0, 1, 1, 0), (0, 2, 1, 0)] */
v_mov_b32 v24, v[vgprValuC+10]                     // store Cr
v_mul_f32 v[vgprValuC+10], s[sgprAlpha], v[vgprValuC+10] // *= alpha ( Cr = Ar * Cr)
_v_mac_f32 v[vgprValuC+10], -s[sgprAlpha+1], v[vgprValuC+11] // *= alpha ( Cr += -Ai * Ci )
v_mul_f32 v[vgprValuC+11], s[sgprAlpha], v[vgprValuC+11] // *= alpha ( Ci = Ar * Ci)
_v_mac_f32 v[vgprValuC+11], s[sgprAlpha+1], v24    // *= alpha ( Ci += Ai * Cr_backup )
v_mov_b32 v24, v[vgprValuC+14]                     // store Cr
v_mul_f32 v[vgprValuC+14], s[sgprAlpha], v[vgprValuC+14] // *= alpha ( Cr = Ar * Cr)
_v_mac_f32 v[vgprValuC+14], -s[sgprAlpha+1], v[vgprValuC+15] // *= alpha ( Cr += -Ai * Ci )
v_mul_f32 v[vgprValuC+15], s[sgprAlpha], v[vgprValuC+15] // *= alpha ( Ci = Ar * Ci)
_v_mac_f32 v[vgprValuC+15], s[sgprAlpha+1], v24    // *= alpha ( Ci += Ai * Cr_backup )
	;; [unrolled: 5-line block ×4, first 2 shown]

/* apply mask, calc new C and issue writes */

s_waitcnt vmcnt(3)                                 // wait C (interleaved) 3 = 4 - 0 + 0 - 1
_v_mac_f32 v[vgprValuC+10], v8, s[sgprBeta]        // finalSum Cr += old Cr * Br
_v_mac_f32 v[vgprValuC+10], v9, -s[sgprBeta+1]     // finalSum Cr += old Ci * -Bi
_v_mac_f32 v[vgprValuC+11], v9, s[sgprBeta]        // finalSum Ci += old Ci * Br
_v_mac_f32 v[vgprValuC+11], v8, s[sgprBeta+1]      // finalSum Ci += old Cr * Bi
_buffer_store_b64 v[10:11], v6, s[sgprSrdD:sgprSrdD+3], 0, offen, offset:1024,  nt // store D

s_waitcnt vmcnt(3)                                 // wait C (interleaved) 3 = 4 - 1 + 1 - 1
_v_mac_f32 v[vgprValuC+14], v12, s[sgprBeta]       // finalSum Cr += old Cr * Br
_v_mac_f32 v[vgprValuC+14], v13, -s[sgprBeta+1]    // finalSum Cr += old Ci * -Bi
_v_mac_f32 v[vgprValuC+15], v13, s[sgprBeta]       // finalSum Ci += old Ci * Br
_v_mac_f32 v[vgprValuC+15], v12, s[sgprBeta+1]     // finalSum Ci += old Cr * Bi
s_lshl_b32  s56, s[sgprStrideD1J], 3               // incToNextRow: Scale by BPE
s_add_u32  s[sgprSrdD+0], s[sgprSrdD+0], s56       // incToNextRow: gra SRD += inc(lower)
s_addc_u32  s[sgprSrdD+1], s[sgprSrdD+1], 0        // incToNextRow: gra SRD += inc(upper)
_buffer_store_b64 v[14:15], v6, s[sgprSrdD:sgprSrdD+3], 0, offen, offset:0,  nt // store D

s_waitcnt vmcnt(3)                                 // wait C (interleaved) 3 = 4 - 2 + 2 - 1
_v_mac_f32 v[vgprValuC+18], v16, s[sgprBeta]       // finalSum Cr += old Cr * Br
_v_mac_f32 v[vgprValuC+18], v17, -s[sgprBeta+1]    // finalSum Cr += old Ci * -Bi
_v_mac_f32 v[vgprValuC+19], v17, s[sgprBeta]       // finalSum Ci += old Ci * Br
_v_mac_f32 v[vgprValuC+19], v16, s[sgprBeta+1]     // finalSum Ci += old Cr * Bi
_buffer_store_b64 v[18:19], v6, s[sgprSrdD:sgprSrdD+3], 0, offen, offset:128,  nt // store D

s_waitcnt vmcnt(3)                                 // wait C (interleaved) 3 = 4 - 3 + 3 - 1
_v_mac_f32 v[vgprValuC+22], v20, s[sgprBeta]       // finalSum Cr += old Cr * Br
_v_mac_f32 v[vgprValuC+22], v21, -s[sgprBeta+1]    // finalSum Cr += old Ci * -Bi
_v_mac_f32 v[vgprValuC+23], v21, s[sgprBeta]       // finalSum Ci += old Ci * Br
_v_mac_f32 v[vgprValuC+23], v20, s[sgprBeta+1]     // finalSum Ci += old Cr * Bi
_buffer_store_b64 v[22:23], v6, s[sgprSrdD:sgprSrdD+3], 0, offen, offset:256,  nt // store D
s_nop 0                                            // 1 wait state required when next inst writes vgprs held by previous dwordx4 store inst
/* optSingleColVgpr=1 optSharedColVgpr=0 optSGPRUsage=BufferLoad_Mask optSrdIncForRow=1 */
s_sleep 3 // optimization: sync and wait
s_barrier

/******************************************/
/* Global Write Alpha Beta Batch #3 (d1,d0,vc1,vc0) = */
/*    (0,3,1,0:vw1); (0,4,1,0:vw1); (0,5,1,0:vw1); (0,6,1,0:vw1) */
/******************************************/

/* calc coords, apply mask, and issue loads (if necessary) */
/* (d1,vc1,d0,vc0)=(0,1,3,0) */
_buffer_load_b64 v[8:9], v7, s[sgprSrdC:sgprSrdC+3], 0, offen offset:384,  nt // load C for beta calc
/* (d1,vc1,d0,vc0)=(0,1,4,0) */
_buffer_load_b64 v[12:13], v7, s[sgprSrdC:sgprSrdC+3], 0, offen offset:512,  nt // load C for beta calc
	;; [unrolled: 2-line block ×4, first 2 shown]
s_sleep 3 // optimization: sync and wait
s_barrier
v_accvgpr_read_b32 v[vgprValuC+10], acc13 // copy acc to vreg[24]
v_accvgpr_read_b32 v[vgprValuC+11], acc85 // copy acc to vreg[25]
v_accvgpr_read_b32 v[vgprValuC+14], acc17 // copy acc to vreg[26]
v_accvgpr_read_b32 v[vgprValuC+15], acc89 // copy acc to vreg[27]
v_accvgpr_read_b32 v[vgprValuC+18], acc21 // copy acc to vreg[28]
v_accvgpr_read_b32 v[vgprValuC+19], acc93 // copy acc to vreg[29]
v_accvgpr_read_b32 v[vgprValuC+22], acc25 // copy acc to vreg[30]
v_accvgpr_read_b32 v[vgprValuC+23], acc97 // copy acc to vreg[31]
s_nop 1                                            // 2 wait states required before reading vgpr

/* rC *= alpha batchElements=[(0, 3, 1, 0), (0, 4, 1, 0), (0, 5, 1, 0), (0, 6, 1, 0)] */
v_mov_b32 v24, v[vgprValuC+10]                     // store Cr
v_mul_f32 v[vgprValuC+10], s[sgprAlpha], v[vgprValuC+10] // *= alpha ( Cr = Ar * Cr)
_v_mac_f32 v[vgprValuC+10], -s[sgprAlpha+1], v[vgprValuC+11] // *= alpha ( Cr += -Ai * Ci )
v_mul_f32 v[vgprValuC+11], s[sgprAlpha], v[vgprValuC+11] // *= alpha ( Ci = Ar * Ci)
_v_mac_f32 v[vgprValuC+11], s[sgprAlpha+1], v24    // *= alpha ( Ci += Ai * Cr_backup )
v_mov_b32 v24, v[vgprValuC+14]                     // store Cr
v_mul_f32 v[vgprValuC+14], s[sgprAlpha], v[vgprValuC+14] // *= alpha ( Cr = Ar * Cr)
_v_mac_f32 v[vgprValuC+14], -s[sgprAlpha+1], v[vgprValuC+15] // *= alpha ( Cr += -Ai * Ci )
v_mul_f32 v[vgprValuC+15], s[sgprAlpha], v[vgprValuC+15] // *= alpha ( Ci = Ar * Ci)
_v_mac_f32 v[vgprValuC+15], s[sgprAlpha+1], v24    // *= alpha ( Ci += Ai * Cr_backup )
	;; [unrolled: 5-line block ×4, first 2 shown]

/* apply mask, calc new C and issue writes */

s_waitcnt vmcnt(3)                                 // wait C (interleaved) 3 = 4 - 0 + 0 - 1
_v_mac_f32 v[vgprValuC+10], v8, s[sgprBeta]        // finalSum Cr += old Cr * Br
_v_mac_f32 v[vgprValuC+10], v9, -s[sgprBeta+1]     // finalSum Cr += old Ci * -Bi
_v_mac_f32 v[vgprValuC+11], v9, s[sgprBeta]        // finalSum Ci += old Ci * Br
_v_mac_f32 v[vgprValuC+11], v8, s[sgprBeta+1]      // finalSum Ci += old Cr * Bi
_buffer_store_b64 v[10:11], v6, s[sgprSrdD:sgprSrdD+3], 0, offen, offset:384,  nt // store D

s_waitcnt vmcnt(3)                                 // wait C (interleaved) 3 = 4 - 1 + 1 - 1
_v_mac_f32 v[vgprValuC+14], v12, s[sgprBeta]       // finalSum Cr += old Cr * Br
_v_mac_f32 v[vgprValuC+14], v13, -s[sgprBeta+1]    // finalSum Cr += old Ci * -Bi
_v_mac_f32 v[vgprValuC+15], v13, s[sgprBeta]       // finalSum Ci += old Ci * Br
_v_mac_f32 v[vgprValuC+15], v12, s[sgprBeta+1]     // finalSum Ci += old Cr * Bi
_buffer_store_b64 v[14:15], v6, s[sgprSrdD:sgprSrdD+3], 0, offen, offset:512,  nt // store D

s_waitcnt vmcnt(3)                                 // wait C (interleaved) 3 = 4 - 2 + 2 - 1
_v_mac_f32 v[vgprValuC+18], v16, s[sgprBeta]       // finalSum Cr += old Cr * Br
_v_mac_f32 v[vgprValuC+18], v17, -s[sgprBeta+1]    // finalSum Cr += old Ci * -Bi
_v_mac_f32 v[vgprValuC+19], v17, s[sgprBeta]       // finalSum Ci += old Ci * Br
_v_mac_f32 v[vgprValuC+19], v16, s[sgprBeta+1]     // finalSum Ci += old Cr * Bi
	;; [unrolled: 7-line block ×3, first 2 shown]
_buffer_store_b64 v[22:23], v6, s[sgprSrdD:sgprSrdD+3], 0, offen, offset:768,  nt // store D
s_nop 0                                            // 1 wait state required when next inst writes vgprs held by previous dwordx4 store inst
/* optSingleColVgpr=1 optSharedColVgpr=0 optSGPRUsage=BufferLoad_Mask optSrdIncForRow=1 */
s_sleep 3 // optimization: sync and wait
s_barrier

/******************************************/
/* Global Write Alpha Beta Batch #4 (d1,d0,vc1,vc0) = */
/*    (0,7,1,0:vw1); (0,8,1,0:vw1); (0,0,2,0:vw1); (0,1,2,0:vw1) */
/******************************************/

/* calc coords, apply mask, and issue loads (if necessary) */
/* (d1,vc1,d0,vc0)=(0,1,7,0) */
_buffer_load_b64 v[8:9], v7, s[sgprSrdC:sgprSrdC+3], 0, offen offset:896,  nt // load C for beta calc
/* (d1,vc1,d0,vc0)=(0,1,8,0) */
_buffer_load_b64 v[12:13], v7, s[sgprSrdC:sgprSrdC+3], 0, offen offset:1024,  nt // load C for beta calc
/* (d1,vc1,d0,vc0)=(0,2,0,0) */
s_lshl_b32  s56, s[sgprStrideC1J], 3               // incToNextRow: Scale by BPE
s_add_u32  s[sgprSrdC+0], s[sgprSrdC+0], s56       // incToNextRow: gra SRD += inc(lower)
s_addc_u32  s[sgprSrdC+1], s[sgprSrdC+1], 0        // incToNextRow: gra SRD += inc(upper)
_buffer_load_b64 v[16:17], v7, s[sgprSrdC:sgprSrdC+3], 0, offen offset:0,  nt // load C for beta calc
/* (d1,vc1,d0,vc0)=(0,2,1,0) */
_buffer_load_b64 v[20:21], v7, s[sgprSrdC:sgprSrdC+3], 0, offen offset:128,  nt // load C for beta calc
s_sleep 3 // optimization: sync and wait
s_barrier
v_accvgpr_read_b32 v[vgprValuC+10], acc29 // copy acc to vreg[32]
v_accvgpr_read_b32 v[vgprValuC+11], acc101 // copy acc to vreg[33]
v_accvgpr_read_b32 v[vgprValuC+14], acc33 // copy acc to vreg[34]
v_accvgpr_read_b32 v[vgprValuC+15], acc105 // copy acc to vreg[35]
v_accvgpr_read_b32 v[vgprValuC+18], acc2 // copy acc to vreg[36]
v_accvgpr_read_b32 v[vgprValuC+19], acc74 // copy acc to vreg[37]
v_accvgpr_read_b32 v[vgprValuC+22], acc6 // copy acc to vreg[38]
v_accvgpr_read_b32 v[vgprValuC+23], acc78 // copy acc to vreg[39]
s_nop 1                                            // 2 wait states required before reading vgpr

/* rC *= alpha batchElements=[(0, 7, 1, 0), (0, 8, 1, 0), (0, 0, 2, 0), (0, 1, 2, 0)] */
v_mov_b32 v24, v[vgprValuC+10]                     // store Cr
v_mul_f32 v[vgprValuC+10], s[sgprAlpha], v[vgprValuC+10] // *= alpha ( Cr = Ar * Cr)
_v_mac_f32 v[vgprValuC+10], -s[sgprAlpha+1], v[vgprValuC+11] // *= alpha ( Cr += -Ai * Ci )
v_mul_f32 v[vgprValuC+11], s[sgprAlpha], v[vgprValuC+11] // *= alpha ( Ci = Ar * Ci)
_v_mac_f32 v[vgprValuC+11], s[sgprAlpha+1], v24    // *= alpha ( Ci += Ai * Cr_backup )
v_mov_b32 v24, v[vgprValuC+14]                     // store Cr
v_mul_f32 v[vgprValuC+14], s[sgprAlpha], v[vgprValuC+14] // *= alpha ( Cr = Ar * Cr)
_v_mac_f32 v[vgprValuC+14], -s[sgprAlpha+1], v[vgprValuC+15] // *= alpha ( Cr += -Ai * Ci )
v_mul_f32 v[vgprValuC+15], s[sgprAlpha], v[vgprValuC+15] // *= alpha ( Ci = Ar * Ci)
_v_mac_f32 v[vgprValuC+15], s[sgprAlpha+1], v24    // *= alpha ( Ci += Ai * Cr_backup )
	;; [unrolled: 5-line block ×4, first 2 shown]

/* apply mask, calc new C and issue writes */

s_waitcnt vmcnt(3)                                 // wait C (interleaved) 3 = 4 - 0 + 0 - 1
_v_mac_f32 v[vgprValuC+10], v8, s[sgprBeta]        // finalSum Cr += old Cr * Br
_v_mac_f32 v[vgprValuC+10], v9, -s[sgprBeta+1]     // finalSum Cr += old Ci * -Bi
_v_mac_f32 v[vgprValuC+11], v9, s[sgprBeta]        // finalSum Ci += old Ci * Br
_v_mac_f32 v[vgprValuC+11], v8, s[sgprBeta+1]      // finalSum Ci += old Cr * Bi
_buffer_store_b64 v[10:11], v6, s[sgprSrdD:sgprSrdD+3], 0, offen, offset:896,  nt // store D

s_waitcnt vmcnt(3)                                 // wait C (interleaved) 3 = 4 - 1 + 1 - 1
_v_mac_f32 v[vgprValuC+14], v12, s[sgprBeta]       // finalSum Cr += old Cr * Br
_v_mac_f32 v[vgprValuC+14], v13, -s[sgprBeta+1]    // finalSum Cr += old Ci * -Bi
_v_mac_f32 v[vgprValuC+15], v13, s[sgprBeta]       // finalSum Ci += old Ci * Br
_v_mac_f32 v[vgprValuC+15], v12, s[sgprBeta+1]     // finalSum Ci += old Cr * Bi
_buffer_store_b64 v[14:15], v6, s[sgprSrdD:sgprSrdD+3], 0, offen, offset:1024,  nt // store D

s_waitcnt vmcnt(3)                                 // wait C (interleaved) 3 = 4 - 2 + 2 - 1
_v_mac_f32 v[vgprValuC+18], v16, s[sgprBeta]       // finalSum Cr += old Cr * Br
_v_mac_f32 v[vgprValuC+18], v17, -s[sgprBeta+1]    // finalSum Cr += old Ci * -Bi
_v_mac_f32 v[vgprValuC+19], v17, s[sgprBeta]       // finalSum Ci += old Ci * Br
_v_mac_f32 v[vgprValuC+19], v16, s[sgprBeta+1]     // finalSum Ci += old Cr * Bi
s_lshl_b32  s56, s[sgprStrideD1J], 3               // incToNextRow: Scale by BPE
s_add_u32  s[sgprSrdD+0], s[sgprSrdD+0], s56       // incToNextRow: gra SRD += inc(lower)
s_addc_u32  s[sgprSrdD+1], s[sgprSrdD+1], 0        // incToNextRow: gra SRD += inc(upper)
_buffer_store_b64 v[18:19], v6, s[sgprSrdD:sgprSrdD+3], 0, offen, offset:0,  nt // store D

s_waitcnt vmcnt(3)                                 // wait C (interleaved) 3 = 4 - 3 + 3 - 1
_v_mac_f32 v[vgprValuC+22], v20, s[sgprBeta]       // finalSum Cr += old Cr * Br
_v_mac_f32 v[vgprValuC+22], v21, -s[sgprBeta+1]    // finalSum Cr += old Ci * -Bi
_v_mac_f32 v[vgprValuC+23], v21, s[sgprBeta]       // finalSum Ci += old Ci * Br
_v_mac_f32 v[vgprValuC+23], v20, s[sgprBeta+1]     // finalSum Ci += old Cr * Bi
_buffer_store_b64 v[22:23], v6, s[sgprSrdD:sgprSrdD+3], 0, offen, offset:128,  nt // store D
s_nop 0                                            // 1 wait state required when next inst writes vgprs held by previous dwordx4 store inst
/* optSingleColVgpr=1 optSharedColVgpr=0 optSGPRUsage=BufferLoad_Mask optSrdIncForRow=1 */
s_sleep 3 // optimization: sync and wait
s_barrier

/******************************************/
/* Global Write Alpha Beta Batch #5 (d1,d0,vc1,vc0) = */
/*    (0,2,2,0:vw1); (0,3,2,0:vw1); (0,4,2,0:vw1); (0,5,2,0:vw1) */
/******************************************/

/* calc coords, apply mask, and issue loads (if necessary) */
/* (d1,vc1,d0,vc0)=(0,2,2,0) */
_buffer_load_b64 v[8:9], v7, s[sgprSrdC:sgprSrdC+3], 0, offen offset:256,  nt // load C for beta calc
/* (d1,vc1,d0,vc0)=(0,2,3,0) */
_buffer_load_b64 v[12:13], v7, s[sgprSrdC:sgprSrdC+3], 0, offen offset:384,  nt // load C for beta calc
	;; [unrolled: 2-line block ×4, first 2 shown]
s_sleep 3 // optimization: sync and wait
s_barrier
v_accvgpr_read_b32 v[vgprValuC+10], acc10 // copy acc to vreg[40]
v_accvgpr_read_b32 v[vgprValuC+11], acc82 // copy acc to vreg[41]
v_accvgpr_read_b32 v[vgprValuC+14], acc14 // copy acc to vreg[42]
v_accvgpr_read_b32 v[vgprValuC+15], acc86 // copy acc to vreg[43]
v_accvgpr_read_b32 v[vgprValuC+18], acc18 // copy acc to vreg[44]
v_accvgpr_read_b32 v[vgprValuC+19], acc90 // copy acc to vreg[45]
v_accvgpr_read_b32 v[vgprValuC+22], acc22 // copy acc to vreg[46]
v_accvgpr_read_b32 v[vgprValuC+23], acc94 // copy acc to vreg[47]
s_nop 1                                            // 2 wait states required before reading vgpr

/* rC *= alpha batchElements=[(0, 2, 2, 0), (0, 3, 2, 0), (0, 4, 2, 0), (0, 5, 2, 0)] */
v_mov_b32 v24, v[vgprValuC+10]                     // store Cr
v_mul_f32 v[vgprValuC+10], s[sgprAlpha], v[vgprValuC+10] // *= alpha ( Cr = Ar * Cr)
_v_mac_f32 v[vgprValuC+10], -s[sgprAlpha+1], v[vgprValuC+11] // *= alpha ( Cr += -Ai * Ci )
v_mul_f32 v[vgprValuC+11], s[sgprAlpha], v[vgprValuC+11] // *= alpha ( Ci = Ar * Ci)
_v_mac_f32 v[vgprValuC+11], s[sgprAlpha+1], v24    // *= alpha ( Ci += Ai * Cr_backup )
v_mov_b32 v24, v[vgprValuC+14]                     // store Cr
v_mul_f32 v[vgprValuC+14], s[sgprAlpha], v[vgprValuC+14] // *= alpha ( Cr = Ar * Cr)
_v_mac_f32 v[vgprValuC+14], -s[sgprAlpha+1], v[vgprValuC+15] // *= alpha ( Cr += -Ai * Ci )
v_mul_f32 v[vgprValuC+15], s[sgprAlpha], v[vgprValuC+15] // *= alpha ( Ci = Ar * Ci)
_v_mac_f32 v[vgprValuC+15], s[sgprAlpha+1], v24    // *= alpha ( Ci += Ai * Cr_backup )
	;; [unrolled: 5-line block ×4, first 2 shown]

/* apply mask, calc new C and issue writes */

s_waitcnt vmcnt(3)                                 // wait C (interleaved) 3 = 4 - 0 + 0 - 1
_v_mac_f32 v[vgprValuC+10], v8, s[sgprBeta]        // finalSum Cr += old Cr * Br
_v_mac_f32 v[vgprValuC+10], v9, -s[sgprBeta+1]     // finalSum Cr += old Ci * -Bi
_v_mac_f32 v[vgprValuC+11], v9, s[sgprBeta]        // finalSum Ci += old Ci * Br
_v_mac_f32 v[vgprValuC+11], v8, s[sgprBeta+1]      // finalSum Ci += old Cr * Bi
_buffer_store_b64 v[10:11], v6, s[sgprSrdD:sgprSrdD+3], 0, offen, offset:256,  nt // store D

s_waitcnt vmcnt(3)                                 // wait C (interleaved) 3 = 4 - 1 + 1 - 1
_v_mac_f32 v[vgprValuC+14], v12, s[sgprBeta]       // finalSum Cr += old Cr * Br
_v_mac_f32 v[vgprValuC+14], v13, -s[sgprBeta+1]    // finalSum Cr += old Ci * -Bi
_v_mac_f32 v[vgprValuC+15], v13, s[sgprBeta]       // finalSum Ci += old Ci * Br
_v_mac_f32 v[vgprValuC+15], v12, s[sgprBeta+1]     // finalSum Ci += old Cr * Bi
_buffer_store_b64 v[14:15], v6, s[sgprSrdD:sgprSrdD+3], 0, offen, offset:384,  nt // store D

s_waitcnt vmcnt(3)                                 // wait C (interleaved) 3 = 4 - 2 + 2 - 1
_v_mac_f32 v[vgprValuC+18], v16, s[sgprBeta]       // finalSum Cr += old Cr * Br
_v_mac_f32 v[vgprValuC+18], v17, -s[sgprBeta+1]    // finalSum Cr += old Ci * -Bi
_v_mac_f32 v[vgprValuC+19], v17, s[sgprBeta]       // finalSum Ci += old Ci * Br
_v_mac_f32 v[vgprValuC+19], v16, s[sgprBeta+1]     // finalSum Ci += old Cr * Bi
	;; [unrolled: 7-line block ×3, first 2 shown]
_buffer_store_b64 v[22:23], v6, s[sgprSrdD:sgprSrdD+3], 0, offen, offset:640,  nt // store D
s_nop 0                                            // 1 wait state required when next inst writes vgprs held by previous dwordx4 store inst
/* optSingleColVgpr=1 optSharedColVgpr=0 optSGPRUsage=BufferLoad_Mask optSrdIncForRow=1 */
s_sleep 3 // optimization: sync and wait
s_barrier

/******************************************/
/* Global Write Alpha Beta Batch #6 (d1,d0,vc1,vc0) = */
/*    (0,6,2,0:vw1); (0,7,2,0:vw1); (0,8,2,0:vw1); (0,0,3,0:vw1) */
/******************************************/

/* calc coords, apply mask, and issue loads (if necessary) */
/* (d1,vc1,d0,vc0)=(0,2,6,0) */
_buffer_load_b64 v[8:9], v7, s[sgprSrdC:sgprSrdC+3], 0, offen offset:768,  nt // load C for beta calc
/* (d1,vc1,d0,vc0)=(0,2,7,0) */
_buffer_load_b64 v[12:13], v7, s[sgprSrdC:sgprSrdC+3], 0, offen offset:896,  nt // load C for beta calc
	;; [unrolled: 2-line block ×3, first 2 shown]
/* (d1,vc1,d0,vc0)=(0,3,0,0) */
s_lshl_b32  s56, s[sgprStrideC1J], 3               // incToNextRow: Scale by BPE
s_add_u32  s[sgprSrdC+0], s[sgprSrdC+0], s56       // incToNextRow: gra SRD += inc(lower)
s_addc_u32  s[sgprSrdC+1], s[sgprSrdC+1], 0        // incToNextRow: gra SRD += inc(upper)
_buffer_load_b64 v[20:21], v7, s[sgprSrdC:sgprSrdC+3], 0, offen offset:0,  nt // load C for beta calc
s_sleep 3 // optimization: sync and wait
s_barrier
v_accvgpr_read_b32 v[vgprValuC+10], acc26 // copy acc to vreg[48]
v_accvgpr_read_b32 v[vgprValuC+11], acc98 // copy acc to vreg[49]
v_accvgpr_read_b32 v[vgprValuC+14], acc30 // copy acc to vreg[50]
v_accvgpr_read_b32 v[vgprValuC+15], acc102 // copy acc to vreg[51]
v_accvgpr_read_b32 v[vgprValuC+18], acc34 // copy acc to vreg[52]
v_accvgpr_read_b32 v[vgprValuC+19], acc106 // copy acc to vreg[53]
v_accvgpr_read_b32 v[vgprValuC+22], acc3 // copy acc to vreg[54]
v_accvgpr_read_b32 v[vgprValuC+23], acc75 // copy acc to vreg[55]
s_nop 1                                            // 2 wait states required before reading vgpr

/* rC *= alpha batchElements=[(0, 6, 2, 0), (0, 7, 2, 0), (0, 8, 2, 0), (0, 0, 3, 0)] */
v_mov_b32 v24, v[vgprValuC+10]                     // store Cr
v_mul_f32 v[vgprValuC+10], s[sgprAlpha], v[vgprValuC+10] // *= alpha ( Cr = Ar * Cr)
_v_mac_f32 v[vgprValuC+10], -s[sgprAlpha+1], v[vgprValuC+11] // *= alpha ( Cr += -Ai * Ci )
v_mul_f32 v[vgprValuC+11], s[sgprAlpha], v[vgprValuC+11] // *= alpha ( Ci = Ar * Ci)
_v_mac_f32 v[vgprValuC+11], s[sgprAlpha+1], v24    // *= alpha ( Ci += Ai * Cr_backup )
v_mov_b32 v24, v[vgprValuC+14]                     // store Cr
v_mul_f32 v[vgprValuC+14], s[sgprAlpha], v[vgprValuC+14] // *= alpha ( Cr = Ar * Cr)
_v_mac_f32 v[vgprValuC+14], -s[sgprAlpha+1], v[vgprValuC+15] // *= alpha ( Cr += -Ai * Ci )
v_mul_f32 v[vgprValuC+15], s[sgprAlpha], v[vgprValuC+15] // *= alpha ( Ci = Ar * Ci)
_v_mac_f32 v[vgprValuC+15], s[sgprAlpha+1], v24    // *= alpha ( Ci += Ai * Cr_backup )
	;; [unrolled: 5-line block ×4, first 2 shown]

/* apply mask, calc new C and issue writes */

s_waitcnt vmcnt(3)                                 // wait C (interleaved) 3 = 4 - 0 + 0 - 1
_v_mac_f32 v[vgprValuC+10], v8, s[sgprBeta]        // finalSum Cr += old Cr * Br
_v_mac_f32 v[vgprValuC+10], v9, -s[sgprBeta+1]     // finalSum Cr += old Ci * -Bi
_v_mac_f32 v[vgprValuC+11], v9, s[sgprBeta]        // finalSum Ci += old Ci * Br
_v_mac_f32 v[vgprValuC+11], v8, s[sgprBeta+1]      // finalSum Ci += old Cr * Bi
_buffer_store_b64 v[10:11], v6, s[sgprSrdD:sgprSrdD+3], 0, offen, offset:768,  nt // store D

s_waitcnt vmcnt(3)                                 // wait C (interleaved) 3 = 4 - 1 + 1 - 1
_v_mac_f32 v[vgprValuC+14], v12, s[sgprBeta]       // finalSum Cr += old Cr * Br
_v_mac_f32 v[vgprValuC+14], v13, -s[sgprBeta+1]    // finalSum Cr += old Ci * -Bi
_v_mac_f32 v[vgprValuC+15], v13, s[sgprBeta]       // finalSum Ci += old Ci * Br
_v_mac_f32 v[vgprValuC+15], v12, s[sgprBeta+1]     // finalSum Ci += old Cr * Bi
_buffer_store_b64 v[14:15], v6, s[sgprSrdD:sgprSrdD+3], 0, offen, offset:896,  nt // store D

s_waitcnt vmcnt(3)                                 // wait C (interleaved) 3 = 4 - 2 + 2 - 1
_v_mac_f32 v[vgprValuC+18], v16, s[sgprBeta]       // finalSum Cr += old Cr * Br
_v_mac_f32 v[vgprValuC+18], v17, -s[sgprBeta+1]    // finalSum Cr += old Ci * -Bi
_v_mac_f32 v[vgprValuC+19], v17, s[sgprBeta]       // finalSum Ci += old Ci * Br
_v_mac_f32 v[vgprValuC+19], v16, s[sgprBeta+1]     // finalSum Ci += old Cr * Bi
	;; [unrolled: 7-line block ×3, first 2 shown]
s_lshl_b32  s56, s[sgprStrideD1J], 3               // incToNextRow: Scale by BPE
s_add_u32  s[sgprSrdD+0], s[sgprSrdD+0], s56       // incToNextRow: gra SRD += inc(lower)
s_addc_u32  s[sgprSrdD+1], s[sgprSrdD+1], 0        // incToNextRow: gra SRD += inc(upper)
_buffer_store_b64 v[22:23], v6, s[sgprSrdD:sgprSrdD+3], 0, offen, offset:0,  nt // store D
s_nop 0                                            // 1 wait state required when next inst writes vgprs held by previous dwordx4 store inst
/* optSingleColVgpr=1 optSharedColVgpr=0 optSGPRUsage=BufferLoad_Mask optSrdIncForRow=1 */
s_sleep 3 // optimization: sync and wait
s_barrier

/******************************************/
/* Global Write Alpha Beta Batch #7 (d1,d0,vc1,vc0) = */
/*    (0,1,3,0:vw1); (0,2,3,0:vw1); (0,3,3,0:vw1); (0,4,3,0:vw1) */
/******************************************/

/* calc coords, apply mask, and issue loads (if necessary) */
/* (d1,vc1,d0,vc0)=(0,3,1,0) */
_buffer_load_b64 v[8:9], v7, s[sgprSrdC:sgprSrdC+3], 0, offen offset:128,  nt // load C for beta calc
/* (d1,vc1,d0,vc0)=(0,3,2,0) */
_buffer_load_b64 v[12:13], v7, s[sgprSrdC:sgprSrdC+3], 0, offen offset:256,  nt // load C for beta calc
	;; [unrolled: 2-line block ×4, first 2 shown]
s_sleep 3 // optimization: sync and wait
s_barrier
v_accvgpr_read_b32 v[vgprValuC+10], acc7 // copy acc to vreg[56]
v_accvgpr_read_b32 v[vgprValuC+11], acc79 // copy acc to vreg[57]
v_accvgpr_read_b32 v[vgprValuC+14], acc11 // copy acc to vreg[58]
v_accvgpr_read_b32 v[vgprValuC+15], acc83 // copy acc to vreg[59]
v_accvgpr_read_b32 v[vgprValuC+18], acc15 // copy acc to vreg[60]
v_accvgpr_read_b32 v[vgprValuC+19], acc87 // copy acc to vreg[61]
v_accvgpr_read_b32 v[vgprValuC+22], acc19 // copy acc to vreg[62]
v_accvgpr_read_b32 v[vgprValuC+23], acc91 // copy acc to vreg[63]
s_nop 1                                            // 2 wait states required before reading vgpr

/* rC *= alpha batchElements=[(0, 1, 3, 0), (0, 2, 3, 0), (0, 3, 3, 0), (0, 4, 3, 0)] */
v_mov_b32 v24, v[vgprValuC+10]                     // store Cr
v_mul_f32 v[vgprValuC+10], s[sgprAlpha], v[vgprValuC+10] // *= alpha ( Cr = Ar * Cr)
_v_mac_f32 v[vgprValuC+10], -s[sgprAlpha+1], v[vgprValuC+11] // *= alpha ( Cr += -Ai * Ci )
v_mul_f32 v[vgprValuC+11], s[sgprAlpha], v[vgprValuC+11] // *= alpha ( Ci = Ar * Ci)
_v_mac_f32 v[vgprValuC+11], s[sgprAlpha+1], v24    // *= alpha ( Ci += Ai * Cr_backup )
v_mov_b32 v24, v[vgprValuC+14]                     // store Cr
v_mul_f32 v[vgprValuC+14], s[sgprAlpha], v[vgprValuC+14] // *= alpha ( Cr = Ar * Cr)
_v_mac_f32 v[vgprValuC+14], -s[sgprAlpha+1], v[vgprValuC+15] // *= alpha ( Cr += -Ai * Ci )
v_mul_f32 v[vgprValuC+15], s[sgprAlpha], v[vgprValuC+15] // *= alpha ( Ci = Ar * Ci)
_v_mac_f32 v[vgprValuC+15], s[sgprAlpha+1], v24    // *= alpha ( Ci += Ai * Cr_backup )
	;; [unrolled: 5-line block ×4, first 2 shown]

/* apply mask, calc new C and issue writes */

s_waitcnt vmcnt(3)                                 // wait C (interleaved) 3 = 4 - 0 + 0 - 1
_v_mac_f32 v[vgprValuC+10], v8, s[sgprBeta]        // finalSum Cr += old Cr * Br
_v_mac_f32 v[vgprValuC+10], v9, -s[sgprBeta+1]     // finalSum Cr += old Ci * -Bi
_v_mac_f32 v[vgprValuC+11], v9, s[sgprBeta]        // finalSum Ci += old Ci * Br
_v_mac_f32 v[vgprValuC+11], v8, s[sgprBeta+1]      // finalSum Ci += old Cr * Bi
_buffer_store_b64 v[10:11], v6, s[sgprSrdD:sgprSrdD+3], 0, offen, offset:128,  nt // store D

s_waitcnt vmcnt(3)                                 // wait C (interleaved) 3 = 4 - 1 + 1 - 1
_v_mac_f32 v[vgprValuC+14], v12, s[sgprBeta]       // finalSum Cr += old Cr * Br
_v_mac_f32 v[vgprValuC+14], v13, -s[sgprBeta+1]    // finalSum Cr += old Ci * -Bi
_v_mac_f32 v[vgprValuC+15], v13, s[sgprBeta]       // finalSum Ci += old Ci * Br
_v_mac_f32 v[vgprValuC+15], v12, s[sgprBeta+1]     // finalSum Ci += old Cr * Bi
_buffer_store_b64 v[14:15], v6, s[sgprSrdD:sgprSrdD+3], 0, offen, offset:256,  nt // store D

s_waitcnt vmcnt(3)                                 // wait C (interleaved) 3 = 4 - 2 + 2 - 1
_v_mac_f32 v[vgprValuC+18], v16, s[sgprBeta]       // finalSum Cr += old Cr * Br
_v_mac_f32 v[vgprValuC+18], v17, -s[sgprBeta+1]    // finalSum Cr += old Ci * -Bi
_v_mac_f32 v[vgprValuC+19], v17, s[sgprBeta]       // finalSum Ci += old Ci * Br
_v_mac_f32 v[vgprValuC+19], v16, s[sgprBeta+1]     // finalSum Ci += old Cr * Bi
	;; [unrolled: 7-line block ×3, first 2 shown]
_buffer_store_b64 v[22:23], v6, s[sgprSrdD:sgprSrdD+3], 0, offen, offset:512,  nt // store D
s_nop 0                                            // 1 wait state required when next inst writes vgprs held by previous dwordx4 store inst
/* optSingleColVgpr=1 optSharedColVgpr=0 optSGPRUsage=BufferLoad_Mask optSrdIncForRow=1 */
s_sleep 3 // optimization: sync and wait
s_barrier

/******************************************/
/* Global Write Alpha Beta Batch #8 (d1,d0,vc1,vc0) = */
/*    (0,5,3,0:vw1); (0,6,3,0:vw1); (0,7,3,0:vw1); (0,8,3,0:vw1) */
/******************************************/

/* calc coords, apply mask, and issue loads (if necessary) */
/* (d1,vc1,d0,vc0)=(0,3,5,0) */
_buffer_load_b64 v[8:9], v7, s[sgprSrdC:sgprSrdC+3], 0, offen offset:640,  nt // load C for beta calc
/* (d1,vc1,d0,vc0)=(0,3,6,0) */
_buffer_load_b64 v[12:13], v7, s[sgprSrdC:sgprSrdC+3], 0, offen offset:768,  nt // load C for beta calc
	;; [unrolled: 2-line block ×4, first 2 shown]
s_sleep 3 // optimization: sync and wait
s_barrier
v_accvgpr_read_b32 v[vgprValuC+10], acc23 // copy acc to vreg[64]
v_accvgpr_read_b32 v[vgprValuC+11], acc95 // copy acc to vreg[65]
v_accvgpr_read_b32 v[vgprValuC+14], acc27 // copy acc to vreg[66]
v_accvgpr_read_b32 v[vgprValuC+15], acc99 // copy acc to vreg[67]
v_accvgpr_read_b32 v[vgprValuC+18], acc31 // copy acc to vreg[68]
v_accvgpr_read_b32 v[vgprValuC+19], acc103 // copy acc to vreg[69]
v_accvgpr_read_b32 v[vgprValuC+22], acc35 // copy acc to vreg[70]
v_accvgpr_read_b32 v[vgprValuC+23], acc107 // copy acc to vreg[71]
s_nop 1                                            // 2 wait states required before reading vgpr

/* rC *= alpha batchElements=[(0, 5, 3, 0), (0, 6, 3, 0), (0, 7, 3, 0), (0, 8, 3, 0)] */
v_mov_b32 v24, v[vgprValuC+10]                     // store Cr
v_mul_f32 v[vgprValuC+10], s[sgprAlpha], v[vgprValuC+10] // *= alpha ( Cr = Ar * Cr)
_v_mac_f32 v[vgprValuC+10], -s[sgprAlpha+1], v[vgprValuC+11] // *= alpha ( Cr += -Ai * Ci )
v_mul_f32 v[vgprValuC+11], s[sgprAlpha], v[vgprValuC+11] // *= alpha ( Ci = Ar * Ci)
_v_mac_f32 v[vgprValuC+11], s[sgprAlpha+1], v24    // *= alpha ( Ci += Ai * Cr_backup )
v_mov_b32 v24, v[vgprValuC+14]                     // store Cr
v_mul_f32 v[vgprValuC+14], s[sgprAlpha], v[vgprValuC+14] // *= alpha ( Cr = Ar * Cr)
_v_mac_f32 v[vgprValuC+14], -s[sgprAlpha+1], v[vgprValuC+15] // *= alpha ( Cr += -Ai * Ci )
v_mul_f32 v[vgprValuC+15], s[sgprAlpha], v[vgprValuC+15] // *= alpha ( Ci = Ar * Ci)
_v_mac_f32 v[vgprValuC+15], s[sgprAlpha+1], v24    // *= alpha ( Ci += Ai * Cr_backup )
	;; [unrolled: 5-line block ×4, first 2 shown]

/* apply mask, calc new C and issue writes */

s_waitcnt vmcnt(3)                                 // wait C (interleaved) 3 = 4 - 0 + 0 - 1
_v_mac_f32 v[vgprValuC+10], v8, s[sgprBeta]        // finalSum Cr += old Cr * Br
_v_mac_f32 v[vgprValuC+10], v9, -s[sgprBeta+1]     // finalSum Cr += old Ci * -Bi
_v_mac_f32 v[vgprValuC+11], v9, s[sgprBeta]        // finalSum Ci += old Ci * Br
_v_mac_f32 v[vgprValuC+11], v8, s[sgprBeta+1]      // finalSum Ci += old Cr * Bi
_buffer_store_b64 v[10:11], v6, s[sgprSrdD:sgprSrdD+3], 0, offen, offset:640,  nt // store D

s_waitcnt vmcnt(3)                                 // wait C (interleaved) 3 = 4 - 1 + 1 - 1
_v_mac_f32 v[vgprValuC+14], v12, s[sgprBeta]       // finalSum Cr += old Cr * Br
_v_mac_f32 v[vgprValuC+14], v13, -s[sgprBeta+1]    // finalSum Cr += old Ci * -Bi
_v_mac_f32 v[vgprValuC+15], v13, s[sgprBeta]       // finalSum Ci += old Ci * Br
_v_mac_f32 v[vgprValuC+15], v12, s[sgprBeta+1]     // finalSum Ci += old Cr * Bi
_buffer_store_b64 v[14:15], v6, s[sgprSrdD:sgprSrdD+3], 0, offen, offset:768,  nt // store D

s_waitcnt vmcnt(3)                                 // wait C (interleaved) 3 = 4 - 2 + 2 - 1
_v_mac_f32 v[vgprValuC+18], v16, s[sgprBeta]       // finalSum Cr += old Cr * Br
_v_mac_f32 v[vgprValuC+18], v17, -s[sgprBeta+1]    // finalSum Cr += old Ci * -Bi
_v_mac_f32 v[vgprValuC+19], v17, s[sgprBeta]       // finalSum Ci += old Ci * Br
_v_mac_f32 v[vgprValuC+19], v16, s[sgprBeta+1]     // finalSum Ci += old Cr * Bi
_buffer_store_b64 v[18:19], v6, s[sgprSrdD:sgprSrdD+3], 0, offen, offset:896,  nt // store D

s_waitcnt vmcnt(3)                                 // wait C (interleaved) 3 = 4 - 3 + 3 - 1
_v_mac_f32 v[vgprValuC+22], v20, s[sgprBeta]       // finalSum Cr += old Cr * Br
_v_mac_f32 v[vgprValuC+22], v21, -s[sgprBeta+1]    // finalSum Cr += old Ci * -Bi
_v_mac_f32 v[vgprValuC+23], v21, s[sgprBeta]       // finalSum Ci += old Ci * Br
_v_mac_f32 v[vgprValuC+23], v20, s[sgprBeta+1]     // finalSum Ci += old Cr * Bi
_buffer_store_b64 v[22:23], v6, s[sgprSrdD:sgprSrdD+3], 0, offen, offset:1024,  nt // store D
s_nop 0                                            // 1 wait state required when next inst writes vgprs held by previous dwordx4 store inst
/* optSingleColVgpr=1 optSharedColVgpr=0 optSGPRUsage=BufferLoad_Mask optSrdIncForRow=1 */
s_sleep 3 // optimization: sync and wait
s_barrier

/******************************************/
/* Global Write Alpha Beta Batch #9 (d1,d0,vc1,vc0) = */
/*    (1,0,0,0:vw1); (1,1,0,0:vw1); (1,2,0,0:vw1); (1,3,0,0:vw1) */
/******************************************/

/* calc coords, apply mask, and issue loads (if necessary) */
/* (d1,vc1,d0,vc0)=(1,0,0,0) */
s_mul_i32 s56, s[sgprStrideC1J], 488               // scale StrideC *= numRows(61) * bpe
s_add_u32  s[sgprSrdC+0], s[sgprSrdC+0], s56       // incToNextRow: gra SRD += inc(lower)
s_addc_u32  s[sgprSrdC+1], s[sgprSrdC+1], 0        // incToNextRow: gra SRD += inc(upper)
_buffer_load_b64 v[8:9], v7, s[sgprSrdC:sgprSrdC+3], 0, offen offset:0,  nt // load C for beta calc
/* (d1,vc1,d0,vc0)=(1,0,1,0) */
_buffer_load_b64 v[12:13], v7, s[sgprSrdC:sgprSrdC+3], 0, offen offset:128,  nt // load C for beta calc
/* (d1,vc1,d0,vc0)=(1,0,2,0) */
	;; [unrolled: 2-line block ×3, first 2 shown]
_buffer_load_b64 v[20:21], v7, s[sgprSrdC:sgprSrdC+3], 0, offen offset:384,  nt // load C for beta calc
s_sleep 3 // optimization: sync and wait
s_barrier
v_accvgpr_read_b32 v[vgprValuC+10], acc36 // copy acc to vreg[72]
v_accvgpr_read_b32 v[vgprValuC+11], acc108 // copy acc to vreg[73]
v_accvgpr_read_b32 v[vgprValuC+14], acc40 // copy acc to vreg[74]
v_accvgpr_read_b32 v[vgprValuC+15], acc112 // copy acc to vreg[75]
v_accvgpr_read_b32 v[vgprValuC+18], acc44 // copy acc to vreg[76]
v_accvgpr_read_b32 v[vgprValuC+19], acc116 // copy acc to vreg[77]
v_accvgpr_read_b32 v[vgprValuC+22], acc48 // copy acc to vreg[78]
v_accvgpr_read_b32 v[vgprValuC+23], acc120 // copy acc to vreg[79]
s_nop 1                                            // 2 wait states required before reading vgpr

/* rC *= alpha batchElements=[(1, 0, 0, 0), (1, 1, 0, 0), (1, 2, 0, 0), (1, 3, 0, 0)] */
v_mov_b32 v24, v[vgprValuC+10]                     // store Cr
v_mul_f32 v[vgprValuC+10], s[sgprAlpha], v[vgprValuC+10] // *= alpha ( Cr = Ar * Cr)
_v_mac_f32 v[vgprValuC+10], -s[sgprAlpha+1], v[vgprValuC+11] // *= alpha ( Cr += -Ai * Ci )
v_mul_f32 v[vgprValuC+11], s[sgprAlpha], v[vgprValuC+11] // *= alpha ( Ci = Ar * Ci)
_v_mac_f32 v[vgprValuC+11], s[sgprAlpha+1], v24    // *= alpha ( Ci += Ai * Cr_backup )
v_mov_b32 v24, v[vgprValuC+14]                     // store Cr
v_mul_f32 v[vgprValuC+14], s[sgprAlpha], v[vgprValuC+14] // *= alpha ( Cr = Ar * Cr)
_v_mac_f32 v[vgprValuC+14], -s[sgprAlpha+1], v[vgprValuC+15] // *= alpha ( Cr += -Ai * Ci )
v_mul_f32 v[vgprValuC+15], s[sgprAlpha], v[vgprValuC+15] // *= alpha ( Ci = Ar * Ci)
_v_mac_f32 v[vgprValuC+15], s[sgprAlpha+1], v24    // *= alpha ( Ci += Ai * Cr_backup )
	;; [unrolled: 5-line block ×4, first 2 shown]

/* apply mask, calc new C and issue writes */

s_waitcnt vmcnt(3)                                 // wait C (interleaved) 3 = 4 - 0 + 0 - 1
_v_mac_f32 v[vgprValuC+10], v8, s[sgprBeta]        // finalSum Cr += old Cr * Br
_v_mac_f32 v[vgprValuC+10], v9, -s[sgprBeta+1]     // finalSum Cr += old Ci * -Bi
_v_mac_f32 v[vgprValuC+11], v9, s[sgprBeta]        // finalSum Ci += old Ci * Br
_v_mac_f32 v[vgprValuC+11], v8, s[sgprBeta+1]      // finalSum Ci += old Cr * Bi
s_mul_i32 s56, s[sgprStrideD1J], 488               // scale StrideD *= numRows(61) * bpe
s_add_u32  s[sgprSrdD+0], s[sgprSrdD+0], s56       // incToNextRow: gra SRD += inc(lower)
s_addc_u32  s[sgprSrdD+1], s[sgprSrdD+1], 0        // incToNextRow: gra SRD += inc(upper)
_buffer_store_b64 v[10:11], v6, s[sgprSrdD:sgprSrdD+3], 0, offen, offset:0,  nt // store D

s_waitcnt vmcnt(3)                                 // wait C (interleaved) 3 = 4 - 1 + 1 - 1
_v_mac_f32 v[vgprValuC+14], v12, s[sgprBeta]       // finalSum Cr += old Cr * Br
_v_mac_f32 v[vgprValuC+14], v13, -s[sgprBeta+1]    // finalSum Cr += old Ci * -Bi
_v_mac_f32 v[vgprValuC+15], v13, s[sgprBeta]       // finalSum Ci += old Ci * Br
_v_mac_f32 v[vgprValuC+15], v12, s[sgprBeta+1]     // finalSum Ci += old Cr * Bi
_buffer_store_b64 v[14:15], v6, s[sgprSrdD:sgprSrdD+3], 0, offen, offset:128,  nt // store D

s_waitcnt vmcnt(3)                                 // wait C (interleaved) 3 = 4 - 2 + 2 - 1
_v_mac_f32 v[vgprValuC+18], v16, s[sgprBeta]       // finalSum Cr += old Cr * Br
_v_mac_f32 v[vgprValuC+18], v17, -s[sgprBeta+1]    // finalSum Cr += old Ci * -Bi
_v_mac_f32 v[vgprValuC+19], v17, s[sgprBeta]       // finalSum Ci += old Ci * Br
_v_mac_f32 v[vgprValuC+19], v16, s[sgprBeta+1]     // finalSum Ci += old Cr * Bi
	;; [unrolled: 7-line block ×3, first 2 shown]
_buffer_store_b64 v[22:23], v6, s[sgprSrdD:sgprSrdD+3], 0, offen, offset:384,  nt // store D
s_nop 0                                            // 1 wait state required when next inst writes vgprs held by previous dwordx4 store inst
/* optSingleColVgpr=1 optSharedColVgpr=0 optSGPRUsage=BufferLoad_Mask optSrdIncForRow=1 */
s_sleep 3 // optimization: sync and wait
s_barrier

/******************************************/
/* Global Write Alpha Beta Batch #10 (d1,d0,vc1,vc0) = */
/*    (1,4,0,0:vw1); (1,5,0,0:vw1); (1,6,0,0:vw1); (1,7,0,0:vw1) */
/******************************************/

/* calc coords, apply mask, and issue loads (if necessary) */
/* (d1,vc1,d0,vc0)=(1,0,4,0) */
_buffer_load_b64 v[8:9], v7, s[sgprSrdC:sgprSrdC+3], 0, offen offset:512,  nt // load C for beta calc
/* (d1,vc1,d0,vc0)=(1,0,5,0) */
_buffer_load_b64 v[12:13], v7, s[sgprSrdC:sgprSrdC+3], 0, offen offset:640,  nt // load C for beta calc
	;; [unrolled: 2-line block ×4, first 2 shown]
s_sleep 3 // optimization: sync and wait
s_barrier
v_accvgpr_read_b32 v[vgprValuC+10], acc52 // copy acc to vreg[80]
v_accvgpr_read_b32 v[vgprValuC+11], acc124 // copy acc to vreg[81]
v_accvgpr_read_b32 v[vgprValuC+14], acc56 // copy acc to vreg[82]
v_accvgpr_read_b32 v[vgprValuC+15], acc128 // copy acc to vreg[83]
v_accvgpr_read_b32 v[vgprValuC+18], acc60 // copy acc to vreg[84]
v_accvgpr_read_b32 v[vgprValuC+19], acc132 // copy acc to vreg[85]
v_accvgpr_read_b32 v[vgprValuC+22], acc64 // copy acc to vreg[86]
v_accvgpr_read_b32 v[vgprValuC+23], acc136 // copy acc to vreg[87]
s_nop 1                                            // 2 wait states required before reading vgpr

/* rC *= alpha batchElements=[(1, 4, 0, 0), (1, 5, 0, 0), (1, 6, 0, 0), (1, 7, 0, 0)] */
v_mov_b32 v24, v[vgprValuC+10]                     // store Cr
v_mul_f32 v[vgprValuC+10], s[sgprAlpha], v[vgprValuC+10] // *= alpha ( Cr = Ar * Cr)
_v_mac_f32 v[vgprValuC+10], -s[sgprAlpha+1], v[vgprValuC+11] // *= alpha ( Cr += -Ai * Ci )
v_mul_f32 v[vgprValuC+11], s[sgprAlpha], v[vgprValuC+11] // *= alpha ( Ci = Ar * Ci)
_v_mac_f32 v[vgprValuC+11], s[sgprAlpha+1], v24    // *= alpha ( Ci += Ai * Cr_backup )
v_mov_b32 v24, v[vgprValuC+14]                     // store Cr
v_mul_f32 v[vgprValuC+14], s[sgprAlpha], v[vgprValuC+14] // *= alpha ( Cr = Ar * Cr)
_v_mac_f32 v[vgprValuC+14], -s[sgprAlpha+1], v[vgprValuC+15] // *= alpha ( Cr += -Ai * Ci )
v_mul_f32 v[vgprValuC+15], s[sgprAlpha], v[vgprValuC+15] // *= alpha ( Ci = Ar * Ci)
_v_mac_f32 v[vgprValuC+15], s[sgprAlpha+1], v24    // *= alpha ( Ci += Ai * Cr_backup )
	;; [unrolled: 5-line block ×4, first 2 shown]

/* apply mask, calc new C and issue writes */

s_waitcnt vmcnt(3)                                 // wait C (interleaved) 3 = 4 - 0 + 0 - 1
_v_mac_f32 v[vgprValuC+10], v8, s[sgprBeta]        // finalSum Cr += old Cr * Br
_v_mac_f32 v[vgprValuC+10], v9, -s[sgprBeta+1]     // finalSum Cr += old Ci * -Bi
_v_mac_f32 v[vgprValuC+11], v9, s[sgprBeta]        // finalSum Ci += old Ci * Br
_v_mac_f32 v[vgprValuC+11], v8, s[sgprBeta+1]      // finalSum Ci += old Cr * Bi
_buffer_store_b64 v[10:11], v6, s[sgprSrdD:sgprSrdD+3], 0, offen, offset:512,  nt // store D

s_waitcnt vmcnt(3)                                 // wait C (interleaved) 3 = 4 - 1 + 1 - 1
_v_mac_f32 v[vgprValuC+14], v12, s[sgprBeta]       // finalSum Cr += old Cr * Br
_v_mac_f32 v[vgprValuC+14], v13, -s[sgprBeta+1]    // finalSum Cr += old Ci * -Bi
_v_mac_f32 v[vgprValuC+15], v13, s[sgprBeta]       // finalSum Ci += old Ci * Br
_v_mac_f32 v[vgprValuC+15], v12, s[sgprBeta+1]     // finalSum Ci += old Cr * Bi
_buffer_store_b64 v[14:15], v6, s[sgprSrdD:sgprSrdD+3], 0, offen, offset:640,  nt // store D

s_waitcnt vmcnt(3)                                 // wait C (interleaved) 3 = 4 - 2 + 2 - 1
_v_mac_f32 v[vgprValuC+18], v16, s[sgprBeta]       // finalSum Cr += old Cr * Br
_v_mac_f32 v[vgprValuC+18], v17, -s[sgprBeta+1]    // finalSum Cr += old Ci * -Bi
_v_mac_f32 v[vgprValuC+19], v17, s[sgprBeta]       // finalSum Ci += old Ci * Br
_v_mac_f32 v[vgprValuC+19], v16, s[sgprBeta+1]     // finalSum Ci += old Cr * Bi
	;; [unrolled: 7-line block ×3, first 2 shown]
_buffer_store_b64 v[22:23], v6, s[sgprSrdD:sgprSrdD+3], 0, offen, offset:896,  nt // store D
s_nop 0                                            // 1 wait state required when next inst writes vgprs held by previous dwordx4 store inst
/* optSingleColVgpr=1 optSharedColVgpr=0 optSGPRUsage=BufferLoad_Mask optSrdIncForRow=1 */
s_sleep 3 // optimization: sync and wait
s_barrier

/******************************************/
/* Global Write Alpha Beta Batch #11 (d1,d0,vc1,vc0) = */
/*    (1,8,0,0:vw1); (1,0,1,0:vw1); (1,1,1,0:vw1); (1,2,1,0:vw1) */
/******************************************/

/* calc coords, apply mask, and issue loads (if necessary) */
/* (d1,vc1,d0,vc0)=(1,0,8,0) */
_buffer_load_b64 v[8:9], v7, s[sgprSrdC:sgprSrdC+3], 0, offen offset:1024,  nt // load C for beta calc
/* (d1,vc1,d0,vc0)=(1,1,0,0) */
s_lshl_b32  s56, s[sgprStrideC1J], 3               // incToNextRow: Scale by BPE
s_add_u32  s[sgprSrdC+0], s[sgprSrdC+0], s56       // incToNextRow: gra SRD += inc(lower)
s_addc_u32  s[sgprSrdC+1], s[sgprSrdC+1], 0        // incToNextRow: gra SRD += inc(upper)
_buffer_load_b64 v[12:13], v7, s[sgprSrdC:sgprSrdC+3], 0, offen offset:0,  nt // load C for beta calc
/* (d1,vc1,d0,vc0)=(1,1,1,0) */
_buffer_load_b64 v[16:17], v7, s[sgprSrdC:sgprSrdC+3], 0, offen offset:128,  nt // load C for beta calc
/* (d1,vc1,d0,vc0)=(1,1,2,0) */
_buffer_load_b64 v[20:21], v7, s[sgprSrdC:sgprSrdC+3], 0, offen offset:256,  nt // load C for beta calc
s_sleep 3 // optimization: sync and wait
s_barrier
v_accvgpr_read_b32 v[vgprValuC+10], acc68 // copy acc to vreg[88]
v_accvgpr_read_b32 v[vgprValuC+11], acc140 // copy acc to vreg[89]
v_accvgpr_read_b32 v[vgprValuC+14], acc37 // copy acc to vreg[90]
v_accvgpr_read_b32 v[vgprValuC+15], acc109 // copy acc to vreg[91]
v_accvgpr_read_b32 v[vgprValuC+18], acc41 // copy acc to vreg[92]
v_accvgpr_read_b32 v[vgprValuC+19], acc113 // copy acc to vreg[93]
v_accvgpr_read_b32 v[vgprValuC+22], acc45 // copy acc to vreg[94]
v_accvgpr_read_b32 v[vgprValuC+23], acc117 // copy acc to vreg[95]
s_nop 1                                            // 2 wait states required before reading vgpr

/* rC *= alpha batchElements=[(1, 8, 0, 0), (1, 0, 1, 0), (1, 1, 1, 0), (1, 2, 1, 0)] */
v_mov_b32 v24, v[vgprValuC+10]                     // store Cr
v_mul_f32 v[vgprValuC+10], s[sgprAlpha], v[vgprValuC+10] // *= alpha ( Cr = Ar * Cr)
_v_mac_f32 v[vgprValuC+10], -s[sgprAlpha+1], v[vgprValuC+11] // *= alpha ( Cr += -Ai * Ci )
v_mul_f32 v[vgprValuC+11], s[sgprAlpha], v[vgprValuC+11] // *= alpha ( Ci = Ar * Ci)
_v_mac_f32 v[vgprValuC+11], s[sgprAlpha+1], v24    // *= alpha ( Ci += Ai * Cr_backup )
v_mov_b32 v24, v[vgprValuC+14]                     // store Cr
v_mul_f32 v[vgprValuC+14], s[sgprAlpha], v[vgprValuC+14] // *= alpha ( Cr = Ar * Cr)
_v_mac_f32 v[vgprValuC+14], -s[sgprAlpha+1], v[vgprValuC+15] // *= alpha ( Cr += -Ai * Ci )
v_mul_f32 v[vgprValuC+15], s[sgprAlpha], v[vgprValuC+15] // *= alpha ( Ci = Ar * Ci)
_v_mac_f32 v[vgprValuC+15], s[sgprAlpha+1], v24    // *= alpha ( Ci += Ai * Cr_backup )
	;; [unrolled: 5-line block ×4, first 2 shown]

/* apply mask, calc new C and issue writes */

s_waitcnt vmcnt(3)                                 // wait C (interleaved) 3 = 4 - 0 + 0 - 1
_v_mac_f32 v[vgprValuC+10], v8, s[sgprBeta]        // finalSum Cr += old Cr * Br
_v_mac_f32 v[vgprValuC+10], v9, -s[sgprBeta+1]     // finalSum Cr += old Ci * -Bi
_v_mac_f32 v[vgprValuC+11], v9, s[sgprBeta]        // finalSum Ci += old Ci * Br
_v_mac_f32 v[vgprValuC+11], v8, s[sgprBeta+1]      // finalSum Ci += old Cr * Bi
_buffer_store_b64 v[10:11], v6, s[sgprSrdD:sgprSrdD+3], 0, offen, offset:1024,  nt // store D

s_waitcnt vmcnt(3)                                 // wait C (interleaved) 3 = 4 - 1 + 1 - 1
_v_mac_f32 v[vgprValuC+14], v12, s[sgprBeta]       // finalSum Cr += old Cr * Br
_v_mac_f32 v[vgprValuC+14], v13, -s[sgprBeta+1]    // finalSum Cr += old Ci * -Bi
_v_mac_f32 v[vgprValuC+15], v13, s[sgprBeta]       // finalSum Ci += old Ci * Br
_v_mac_f32 v[vgprValuC+15], v12, s[sgprBeta+1]     // finalSum Ci += old Cr * Bi
s_lshl_b32  s56, s[sgprStrideD1J], 3               // incToNextRow: Scale by BPE
s_add_u32  s[sgprSrdD+0], s[sgprSrdD+0], s56       // incToNextRow: gra SRD += inc(lower)
s_addc_u32  s[sgprSrdD+1], s[sgprSrdD+1], 0        // incToNextRow: gra SRD += inc(upper)
_buffer_store_b64 v[14:15], v6, s[sgprSrdD:sgprSrdD+3], 0, offen, offset:0,  nt // store D

s_waitcnt vmcnt(3)                                 // wait C (interleaved) 3 = 4 - 2 + 2 - 1
_v_mac_f32 v[vgprValuC+18], v16, s[sgprBeta]       // finalSum Cr += old Cr * Br
_v_mac_f32 v[vgprValuC+18], v17, -s[sgprBeta+1]    // finalSum Cr += old Ci * -Bi
_v_mac_f32 v[vgprValuC+19], v17, s[sgprBeta]       // finalSum Ci += old Ci * Br
_v_mac_f32 v[vgprValuC+19], v16, s[sgprBeta+1]     // finalSum Ci += old Cr * Bi
_buffer_store_b64 v[18:19], v6, s[sgprSrdD:sgprSrdD+3], 0, offen, offset:128,  nt // store D

s_waitcnt vmcnt(3)                                 // wait C (interleaved) 3 = 4 - 3 + 3 - 1
_v_mac_f32 v[vgprValuC+22], v20, s[sgprBeta]       // finalSum Cr += old Cr * Br
_v_mac_f32 v[vgprValuC+22], v21, -s[sgprBeta+1]    // finalSum Cr += old Ci * -Bi
_v_mac_f32 v[vgprValuC+23], v21, s[sgprBeta]       // finalSum Ci += old Ci * Br
_v_mac_f32 v[vgprValuC+23], v20, s[sgprBeta+1]     // finalSum Ci += old Cr * Bi
_buffer_store_b64 v[22:23], v6, s[sgprSrdD:sgprSrdD+3], 0, offen, offset:256,  nt // store D
s_nop 0                                            // 1 wait state required when next inst writes vgprs held by previous dwordx4 store inst
/* optSingleColVgpr=1 optSharedColVgpr=0 optSGPRUsage=BufferLoad_Mask optSrdIncForRow=1 */
s_sleep 3 // optimization: sync and wait
s_barrier

/******************************************/
/* Global Write Alpha Beta Batch #12 (d1,d0,vc1,vc0) = */
/*    (1,3,1,0:vw1); (1,4,1,0:vw1); (1,5,1,0:vw1); (1,6,1,0:vw1) */
/******************************************/

/* calc coords, apply mask, and issue loads (if necessary) */
/* (d1,vc1,d0,vc0)=(1,1,3,0) */
_buffer_load_b64 v[8:9], v7, s[sgprSrdC:sgprSrdC+3], 0, offen offset:384,  nt // load C for beta calc
/* (d1,vc1,d0,vc0)=(1,1,4,0) */
_buffer_load_b64 v[12:13], v7, s[sgprSrdC:sgprSrdC+3], 0, offen offset:512,  nt // load C for beta calc
	;; [unrolled: 2-line block ×4, first 2 shown]
s_sleep 3 // optimization: sync and wait
s_barrier
v_accvgpr_read_b32 v[vgprValuC+10], acc49 // copy acc to vreg[96]
v_accvgpr_read_b32 v[vgprValuC+11], acc121 // copy acc to vreg[97]
v_accvgpr_read_b32 v[vgprValuC+14], acc53 // copy acc to vreg[98]
v_accvgpr_read_b32 v[vgprValuC+15], acc125 // copy acc to vreg[99]
v_accvgpr_read_b32 v[vgprValuC+18], acc57 // copy acc to vreg[100]
v_accvgpr_read_b32 v[vgprValuC+19], acc129 // copy acc to vreg[101]
v_accvgpr_read_b32 v[vgprValuC+22], acc61 // copy acc to vreg[102]
v_accvgpr_read_b32 v[vgprValuC+23], acc133 // copy acc to vreg[103]
s_nop 1                                            // 2 wait states required before reading vgpr

/* rC *= alpha batchElements=[(1, 3, 1, 0), (1, 4, 1, 0), (1, 5, 1, 0), (1, 6, 1, 0)] */
v_mov_b32 v24, v[vgprValuC+10]                     // store Cr
v_mul_f32 v[vgprValuC+10], s[sgprAlpha], v[vgprValuC+10] // *= alpha ( Cr = Ar * Cr)
_v_mac_f32 v[vgprValuC+10], -s[sgprAlpha+1], v[vgprValuC+11] // *= alpha ( Cr += -Ai * Ci )
v_mul_f32 v[vgprValuC+11], s[sgprAlpha], v[vgprValuC+11] // *= alpha ( Ci = Ar * Ci)
_v_mac_f32 v[vgprValuC+11], s[sgprAlpha+1], v24    // *= alpha ( Ci += Ai * Cr_backup )
v_mov_b32 v24, v[vgprValuC+14]                     // store Cr
v_mul_f32 v[vgprValuC+14], s[sgprAlpha], v[vgprValuC+14] // *= alpha ( Cr = Ar * Cr)
_v_mac_f32 v[vgprValuC+14], -s[sgprAlpha+1], v[vgprValuC+15] // *= alpha ( Cr += -Ai * Ci )
v_mul_f32 v[vgprValuC+15], s[sgprAlpha], v[vgprValuC+15] // *= alpha ( Ci = Ar * Ci)
_v_mac_f32 v[vgprValuC+15], s[sgprAlpha+1], v24    // *= alpha ( Ci += Ai * Cr_backup )
	;; [unrolled: 5-line block ×4, first 2 shown]

/* apply mask, calc new C and issue writes */

s_waitcnt vmcnt(3)                                 // wait C (interleaved) 3 = 4 - 0 + 0 - 1
_v_mac_f32 v[vgprValuC+10], v8, s[sgprBeta]        // finalSum Cr += old Cr * Br
_v_mac_f32 v[vgprValuC+10], v9, -s[sgprBeta+1]     // finalSum Cr += old Ci * -Bi
_v_mac_f32 v[vgprValuC+11], v9, s[sgprBeta]        // finalSum Ci += old Ci * Br
_v_mac_f32 v[vgprValuC+11], v8, s[sgprBeta+1]      // finalSum Ci += old Cr * Bi
_buffer_store_b64 v[10:11], v6, s[sgprSrdD:sgprSrdD+3], 0, offen, offset:384,  nt // store D

s_waitcnt vmcnt(3)                                 // wait C (interleaved) 3 = 4 - 1 + 1 - 1
_v_mac_f32 v[vgprValuC+14], v12, s[sgprBeta]       // finalSum Cr += old Cr * Br
_v_mac_f32 v[vgprValuC+14], v13, -s[sgprBeta+1]    // finalSum Cr += old Ci * -Bi
_v_mac_f32 v[vgprValuC+15], v13, s[sgprBeta]       // finalSum Ci += old Ci * Br
_v_mac_f32 v[vgprValuC+15], v12, s[sgprBeta+1]     // finalSum Ci += old Cr * Bi
_buffer_store_b64 v[14:15], v6, s[sgprSrdD:sgprSrdD+3], 0, offen, offset:512,  nt // store D

s_waitcnt vmcnt(3)                                 // wait C (interleaved) 3 = 4 - 2 + 2 - 1
_v_mac_f32 v[vgprValuC+18], v16, s[sgprBeta]       // finalSum Cr += old Cr * Br
_v_mac_f32 v[vgprValuC+18], v17, -s[sgprBeta+1]    // finalSum Cr += old Ci * -Bi
_v_mac_f32 v[vgprValuC+19], v17, s[sgprBeta]       // finalSum Ci += old Ci * Br
_v_mac_f32 v[vgprValuC+19], v16, s[sgprBeta+1]     // finalSum Ci += old Cr * Bi
	;; [unrolled: 7-line block ×3, first 2 shown]
_buffer_store_b64 v[22:23], v6, s[sgprSrdD:sgprSrdD+3], 0, offen, offset:768,  nt // store D
s_nop 0                                            // 1 wait state required when next inst writes vgprs held by previous dwordx4 store inst
/* optSingleColVgpr=1 optSharedColVgpr=0 optSGPRUsage=BufferLoad_Mask optSrdIncForRow=1 */
s_sleep 3 // optimization: sync and wait
s_barrier

/******************************************/
/* Global Write Alpha Beta Batch #13 (d1,d0,vc1,vc0) = */
/*    (1,7,1,0:vw1); (1,8,1,0:vw1); (1,0,2,0:vw1); (1,1,2,0:vw1) */
/******************************************/

/* calc coords, apply mask, and issue loads (if necessary) */
/* (d1,vc1,d0,vc0)=(1,1,7,0) */
_buffer_load_b64 v[8:9], v7, s[sgprSrdC:sgprSrdC+3], 0, offen offset:896,  nt // load C for beta calc
/* (d1,vc1,d0,vc0)=(1,1,8,0) */
_buffer_load_b64 v[12:13], v7, s[sgprSrdC:sgprSrdC+3], 0, offen offset:1024,  nt // load C for beta calc
/* (d1,vc1,d0,vc0)=(1,2,0,0) */
s_lshl_b32  s56, s[sgprStrideC1J], 3               // incToNextRow: Scale by BPE
s_add_u32  s[sgprSrdC+0], s[sgprSrdC+0], s56       // incToNextRow: gra SRD += inc(lower)
s_addc_u32  s[sgprSrdC+1], s[sgprSrdC+1], 0        // incToNextRow: gra SRD += inc(upper)
_buffer_load_b64 v[16:17], v7, s[sgprSrdC:sgprSrdC+3], 0, offen offset:0,  nt // load C for beta calc
/* (d1,vc1,d0,vc0)=(1,2,1,0) */
_buffer_load_b64 v[20:21], v7, s[sgprSrdC:sgprSrdC+3], 0, offen offset:128,  nt // load C for beta calc
s_sleep 3 // optimization: sync and wait
s_barrier
v_accvgpr_read_b32 v[vgprValuC+10], acc65 // copy acc to vreg[104]
v_accvgpr_read_b32 v[vgprValuC+11], acc137 // copy acc to vreg[105]
v_accvgpr_read_b32 v[vgprValuC+14], acc69 // copy acc to vreg[106]
v_accvgpr_read_b32 v[vgprValuC+15], acc141 // copy acc to vreg[107]
v_accvgpr_read_b32 v[vgprValuC+18], acc38 // copy acc to vreg[108]
v_accvgpr_read_b32 v[vgprValuC+19], acc110 // copy acc to vreg[109]
v_accvgpr_read_b32 v[vgprValuC+22], acc42 // copy acc to vreg[110]
v_accvgpr_read_b32 v[vgprValuC+23], acc114 // copy acc to vreg[111]
s_nop 1                                            // 2 wait states required before reading vgpr

/* rC *= alpha batchElements=[(1, 7, 1, 0), (1, 8, 1, 0), (1, 0, 2, 0), (1, 1, 2, 0)] */
v_mov_b32 v24, v[vgprValuC+10]                     // store Cr
v_mul_f32 v[vgprValuC+10], s[sgprAlpha], v[vgprValuC+10] // *= alpha ( Cr = Ar * Cr)
_v_mac_f32 v[vgprValuC+10], -s[sgprAlpha+1], v[vgprValuC+11] // *= alpha ( Cr += -Ai * Ci )
v_mul_f32 v[vgprValuC+11], s[sgprAlpha], v[vgprValuC+11] // *= alpha ( Ci = Ar * Ci)
_v_mac_f32 v[vgprValuC+11], s[sgprAlpha+1], v24    // *= alpha ( Ci += Ai * Cr_backup )
v_mov_b32 v24, v[vgprValuC+14]                     // store Cr
v_mul_f32 v[vgprValuC+14], s[sgprAlpha], v[vgprValuC+14] // *= alpha ( Cr = Ar * Cr)
_v_mac_f32 v[vgprValuC+14], -s[sgprAlpha+1], v[vgprValuC+15] // *= alpha ( Cr += -Ai * Ci )
v_mul_f32 v[vgprValuC+15], s[sgprAlpha], v[vgprValuC+15] // *= alpha ( Ci = Ar * Ci)
_v_mac_f32 v[vgprValuC+15], s[sgprAlpha+1], v24    // *= alpha ( Ci += Ai * Cr_backup )
	;; [unrolled: 5-line block ×4, first 2 shown]

/* apply mask, calc new C and issue writes */

s_waitcnt vmcnt(3)                                 // wait C (interleaved) 3 = 4 - 0 + 0 - 1
_v_mac_f32 v[vgprValuC+10], v8, s[sgprBeta]        // finalSum Cr += old Cr * Br
_v_mac_f32 v[vgprValuC+10], v9, -s[sgprBeta+1]     // finalSum Cr += old Ci * -Bi
_v_mac_f32 v[vgprValuC+11], v9, s[sgprBeta]        // finalSum Ci += old Ci * Br
_v_mac_f32 v[vgprValuC+11], v8, s[sgprBeta+1]      // finalSum Ci += old Cr * Bi
_buffer_store_b64 v[10:11], v6, s[sgprSrdD:sgprSrdD+3], 0, offen, offset:896,  nt // store D

s_waitcnt vmcnt(3)                                 // wait C (interleaved) 3 = 4 - 1 + 1 - 1
_v_mac_f32 v[vgprValuC+14], v12, s[sgprBeta]       // finalSum Cr += old Cr * Br
_v_mac_f32 v[vgprValuC+14], v13, -s[sgprBeta+1]    // finalSum Cr += old Ci * -Bi
_v_mac_f32 v[vgprValuC+15], v13, s[sgprBeta]       // finalSum Ci += old Ci * Br
_v_mac_f32 v[vgprValuC+15], v12, s[sgprBeta+1]     // finalSum Ci += old Cr * Bi
_buffer_store_b64 v[14:15], v6, s[sgprSrdD:sgprSrdD+3], 0, offen, offset:1024,  nt // store D

s_waitcnt vmcnt(3)                                 // wait C (interleaved) 3 = 4 - 2 + 2 - 1
_v_mac_f32 v[vgprValuC+18], v16, s[sgprBeta]       // finalSum Cr += old Cr * Br
_v_mac_f32 v[vgprValuC+18], v17, -s[sgprBeta+1]    // finalSum Cr += old Ci * -Bi
_v_mac_f32 v[vgprValuC+19], v17, s[sgprBeta]       // finalSum Ci += old Ci * Br
_v_mac_f32 v[vgprValuC+19], v16, s[sgprBeta+1]     // finalSum Ci += old Cr * Bi
s_lshl_b32  s56, s[sgprStrideD1J], 3               // incToNextRow: Scale by BPE
s_add_u32  s[sgprSrdD+0], s[sgprSrdD+0], s56       // incToNextRow: gra SRD += inc(lower)
s_addc_u32  s[sgprSrdD+1], s[sgprSrdD+1], 0        // incToNextRow: gra SRD += inc(upper)
_buffer_store_b64 v[18:19], v6, s[sgprSrdD:sgprSrdD+3], 0, offen, offset:0,  nt // store D

s_waitcnt vmcnt(3)                                 // wait C (interleaved) 3 = 4 - 3 + 3 - 1
_v_mac_f32 v[vgprValuC+22], v20, s[sgprBeta]       // finalSum Cr += old Cr * Br
_v_mac_f32 v[vgprValuC+22], v21, -s[sgprBeta+1]    // finalSum Cr += old Ci * -Bi
_v_mac_f32 v[vgprValuC+23], v21, s[sgprBeta]       // finalSum Ci += old Ci * Br
_v_mac_f32 v[vgprValuC+23], v20, s[sgprBeta+1]     // finalSum Ci += old Cr * Bi
_buffer_store_b64 v[22:23], v6, s[sgprSrdD:sgprSrdD+3], 0, offen, offset:128,  nt // store D
s_nop 0                                            // 1 wait state required when next inst writes vgprs held by previous dwordx4 store inst
/* optSingleColVgpr=1 optSharedColVgpr=0 optSGPRUsage=BufferLoad_Mask optSrdIncForRow=1 */
s_sleep 3 // optimization: sync and wait
s_barrier

/******************************************/
/* Global Write Alpha Beta Batch #14 (d1,d0,vc1,vc0) = */
/*    (1,2,2,0:vw1); (1,3,2,0:vw1); (1,4,2,0:vw1); (1,5,2,0:vw1) */
/******************************************/

/* calc coords, apply mask, and issue loads (if necessary) */
/* (d1,vc1,d0,vc0)=(1,2,2,0) */
_buffer_load_b64 v[8:9], v7, s[sgprSrdC:sgprSrdC+3], 0, offen offset:256,  nt // load C for beta calc
/* (d1,vc1,d0,vc0)=(1,2,3,0) */
_buffer_load_b64 v[12:13], v7, s[sgprSrdC:sgprSrdC+3], 0, offen offset:384,  nt // load C for beta calc
	;; [unrolled: 2-line block ×4, first 2 shown]
s_sleep 3 // optimization: sync and wait
s_barrier
v_accvgpr_read_b32 v[vgprValuC+10], acc46 // copy acc to vreg[112]
v_accvgpr_read_b32 v[vgprValuC+11], acc118 // copy acc to vreg[113]
v_accvgpr_read_b32 v[vgprValuC+14], acc50 // copy acc to vreg[114]
v_accvgpr_read_b32 v[vgprValuC+15], acc122 // copy acc to vreg[115]
v_accvgpr_read_b32 v[vgprValuC+18], acc54 // copy acc to vreg[116]
v_accvgpr_read_b32 v[vgprValuC+19], acc126 // copy acc to vreg[117]
v_accvgpr_read_b32 v[vgprValuC+22], acc58 // copy acc to vreg[118]
v_accvgpr_read_b32 v[vgprValuC+23], acc130 // copy acc to vreg[119]
s_nop 1                                            // 2 wait states required before reading vgpr

/* rC *= alpha batchElements=[(1, 2, 2, 0), (1, 3, 2, 0), (1, 4, 2, 0), (1, 5, 2, 0)] */
v_mov_b32 v24, v[vgprValuC+10]                     // store Cr
v_mul_f32 v[vgprValuC+10], s[sgprAlpha], v[vgprValuC+10] // *= alpha ( Cr = Ar * Cr)
_v_mac_f32 v[vgprValuC+10], -s[sgprAlpha+1], v[vgprValuC+11] // *= alpha ( Cr += -Ai * Ci )
v_mul_f32 v[vgprValuC+11], s[sgprAlpha], v[vgprValuC+11] // *= alpha ( Ci = Ar * Ci)
_v_mac_f32 v[vgprValuC+11], s[sgprAlpha+1], v24    // *= alpha ( Ci += Ai * Cr_backup )
v_mov_b32 v24, v[vgprValuC+14]                     // store Cr
v_mul_f32 v[vgprValuC+14], s[sgprAlpha], v[vgprValuC+14] // *= alpha ( Cr = Ar * Cr)
_v_mac_f32 v[vgprValuC+14], -s[sgprAlpha+1], v[vgprValuC+15] // *= alpha ( Cr += -Ai * Ci )
v_mul_f32 v[vgprValuC+15], s[sgprAlpha], v[vgprValuC+15] // *= alpha ( Ci = Ar * Ci)
_v_mac_f32 v[vgprValuC+15], s[sgprAlpha+1], v24    // *= alpha ( Ci += Ai * Cr_backup )
	;; [unrolled: 5-line block ×4, first 2 shown]

/* apply mask, calc new C and issue writes */

s_waitcnt vmcnt(3)                                 // wait C (interleaved) 3 = 4 - 0 + 0 - 1
_v_mac_f32 v[vgprValuC+10], v8, s[sgprBeta]        // finalSum Cr += old Cr * Br
_v_mac_f32 v[vgprValuC+10], v9, -s[sgprBeta+1]     // finalSum Cr += old Ci * -Bi
_v_mac_f32 v[vgprValuC+11], v9, s[sgprBeta]        // finalSum Ci += old Ci * Br
_v_mac_f32 v[vgprValuC+11], v8, s[sgprBeta+1]      // finalSum Ci += old Cr * Bi
_buffer_store_b64 v[10:11], v6, s[sgprSrdD:sgprSrdD+3], 0, offen, offset:256,  nt // store D

s_waitcnt vmcnt(3)                                 // wait C (interleaved) 3 = 4 - 1 + 1 - 1
_v_mac_f32 v[vgprValuC+14], v12, s[sgprBeta]       // finalSum Cr += old Cr * Br
_v_mac_f32 v[vgprValuC+14], v13, -s[sgprBeta+1]    // finalSum Cr += old Ci * -Bi
_v_mac_f32 v[vgprValuC+15], v13, s[sgprBeta]       // finalSum Ci += old Ci * Br
_v_mac_f32 v[vgprValuC+15], v12, s[sgprBeta+1]     // finalSum Ci += old Cr * Bi
_buffer_store_b64 v[14:15], v6, s[sgprSrdD:sgprSrdD+3], 0, offen, offset:384,  nt // store D

s_waitcnt vmcnt(3)                                 // wait C (interleaved) 3 = 4 - 2 + 2 - 1
_v_mac_f32 v[vgprValuC+18], v16, s[sgprBeta]       // finalSum Cr += old Cr * Br
_v_mac_f32 v[vgprValuC+18], v17, -s[sgprBeta+1]    // finalSum Cr += old Ci * -Bi
_v_mac_f32 v[vgprValuC+19], v17, s[sgprBeta]       // finalSum Ci += old Ci * Br
_v_mac_f32 v[vgprValuC+19], v16, s[sgprBeta+1]     // finalSum Ci += old Cr * Bi
	;; [unrolled: 7-line block ×3, first 2 shown]
_buffer_store_b64 v[22:23], v6, s[sgprSrdD:sgprSrdD+3], 0, offen, offset:640,  nt // store D
s_nop 0                                            // 1 wait state required when next inst writes vgprs held by previous dwordx4 store inst
/* optSingleColVgpr=1 optSharedColVgpr=0 optSGPRUsage=BufferLoad_Mask optSrdIncForRow=1 */
s_sleep 3 // optimization: sync and wait
s_barrier

/******************************************/
/* Global Write Alpha Beta Batch #15 (d1,d0,vc1,vc0) = */
/*    (1,6,2,0:vw1); (1,7,2,0:vw1); (1,8,2,0:vw1); (1,0,3,0:vw1) */
/******************************************/

/* calc coords, apply mask, and issue loads (if necessary) */
/* (d1,vc1,d0,vc0)=(1,2,6,0) */
_buffer_load_b64 v[8:9], v7, s[sgprSrdC:sgprSrdC+3], 0, offen offset:768,  nt // load C for beta calc
/* (d1,vc1,d0,vc0)=(1,2,7,0) */
_buffer_load_b64 v[12:13], v7, s[sgprSrdC:sgprSrdC+3], 0, offen offset:896,  nt // load C for beta calc
	;; [unrolled: 2-line block ×3, first 2 shown]
/* (d1,vc1,d0,vc0)=(1,3,0,0) */
s_lshl_b32  s56, s[sgprStrideC1J], 3               // incToNextRow: Scale by BPE
s_add_u32  s[sgprSrdC+0], s[sgprSrdC+0], s56       // incToNextRow: gra SRD += inc(lower)
s_addc_u32  s[sgprSrdC+1], s[sgprSrdC+1], 0        // incToNextRow: gra SRD += inc(upper)
_buffer_load_b64 v[20:21], v7, s[sgprSrdC:sgprSrdC+3], 0, offen offset:0,  nt // load C for beta calc
s_sleep 3 // optimization: sync and wait
s_barrier
v_accvgpr_read_b32 v[vgprValuC+10], acc62 // copy acc to vreg[120]
v_accvgpr_read_b32 v[vgprValuC+11], acc134 // copy acc to vreg[121]
v_accvgpr_read_b32 v[vgprValuC+14], acc66 // copy acc to vreg[122]
v_accvgpr_read_b32 v[vgprValuC+15], acc138 // copy acc to vreg[123]
v_accvgpr_read_b32 v[vgprValuC+18], acc70 // copy acc to vreg[124]
v_accvgpr_read_b32 v[vgprValuC+19], acc142 // copy acc to vreg[125]
v_accvgpr_read_b32 v[vgprValuC+22], acc39 // copy acc to vreg[126]
v_accvgpr_read_b32 v[vgprValuC+23], acc111 // copy acc to vreg[127]
s_nop 1                                            // 2 wait states required before reading vgpr

/* rC *= alpha batchElements=[(1, 6, 2, 0), (1, 7, 2, 0), (1, 8, 2, 0), (1, 0, 3, 0)] */
v_mov_b32 v24, v[vgprValuC+10]                     // store Cr
v_mul_f32 v[vgprValuC+10], s[sgprAlpha], v[vgprValuC+10] // *= alpha ( Cr = Ar * Cr)
_v_mac_f32 v[vgprValuC+10], -s[sgprAlpha+1], v[vgprValuC+11] // *= alpha ( Cr += -Ai * Ci )
v_mul_f32 v[vgprValuC+11], s[sgprAlpha], v[vgprValuC+11] // *= alpha ( Ci = Ar * Ci)
_v_mac_f32 v[vgprValuC+11], s[sgprAlpha+1], v24    // *= alpha ( Ci += Ai * Cr_backup )
v_mov_b32 v24, v[vgprValuC+14]                     // store Cr
v_mul_f32 v[vgprValuC+14], s[sgprAlpha], v[vgprValuC+14] // *= alpha ( Cr = Ar * Cr)
_v_mac_f32 v[vgprValuC+14], -s[sgprAlpha+1], v[vgprValuC+15] // *= alpha ( Cr += -Ai * Ci )
v_mul_f32 v[vgprValuC+15], s[sgprAlpha], v[vgprValuC+15] // *= alpha ( Ci = Ar * Ci)
_v_mac_f32 v[vgprValuC+15], s[sgprAlpha+1], v24    // *= alpha ( Ci += Ai * Cr_backup )
	;; [unrolled: 5-line block ×4, first 2 shown]

/* apply mask, calc new C and issue writes */

s_waitcnt vmcnt(3)                                 // wait C (interleaved) 3 = 4 - 0 + 0 - 1
_v_mac_f32 v[vgprValuC+10], v8, s[sgprBeta]        // finalSum Cr += old Cr * Br
_v_mac_f32 v[vgprValuC+10], v9, -s[sgprBeta+1]     // finalSum Cr += old Ci * -Bi
_v_mac_f32 v[vgprValuC+11], v9, s[sgprBeta]        // finalSum Ci += old Ci * Br
_v_mac_f32 v[vgprValuC+11], v8, s[sgprBeta+1]      // finalSum Ci += old Cr * Bi
_buffer_store_b64 v[10:11], v6, s[sgprSrdD:sgprSrdD+3], 0, offen, offset:768,  nt // store D

s_waitcnt vmcnt(3)                                 // wait C (interleaved) 3 = 4 - 1 + 1 - 1
_v_mac_f32 v[vgprValuC+14], v12, s[sgprBeta]       // finalSum Cr += old Cr * Br
_v_mac_f32 v[vgprValuC+14], v13, -s[sgprBeta+1]    // finalSum Cr += old Ci * -Bi
_v_mac_f32 v[vgprValuC+15], v13, s[sgprBeta]       // finalSum Ci += old Ci * Br
_v_mac_f32 v[vgprValuC+15], v12, s[sgprBeta+1]     // finalSum Ci += old Cr * Bi
_buffer_store_b64 v[14:15], v6, s[sgprSrdD:sgprSrdD+3], 0, offen, offset:896,  nt // store D

s_waitcnt vmcnt(3)                                 // wait C (interleaved) 3 = 4 - 2 + 2 - 1
_v_mac_f32 v[vgprValuC+18], v16, s[sgprBeta]       // finalSum Cr += old Cr * Br
_v_mac_f32 v[vgprValuC+18], v17, -s[sgprBeta+1]    // finalSum Cr += old Ci * -Bi
_v_mac_f32 v[vgprValuC+19], v17, s[sgprBeta]       // finalSum Ci += old Ci * Br
_v_mac_f32 v[vgprValuC+19], v16, s[sgprBeta+1]     // finalSum Ci += old Cr * Bi
	;; [unrolled: 7-line block ×3, first 2 shown]
s_lshl_b32  s56, s[sgprStrideD1J], 3               // incToNextRow: Scale by BPE
s_add_u32  s[sgprSrdD+0], s[sgprSrdD+0], s56       // incToNextRow: gra SRD += inc(lower)
s_addc_u32  s[sgprSrdD+1], s[sgprSrdD+1], 0        // incToNextRow: gra SRD += inc(upper)
_buffer_store_b64 v[22:23], v6, s[sgprSrdD:sgprSrdD+3], 0, offen, offset:0,  nt // store D
s_nop 0                                            // 1 wait state required when next inst writes vgprs held by previous dwordx4 store inst
/* optSingleColVgpr=1 optSharedColVgpr=0 optSGPRUsage=BufferLoad_Mask optSrdIncForRow=1 */
s_sleep 3 // optimization: sync and wait
s_barrier

/******************************************/
/* Global Write Alpha Beta Batch #16 (d1,d0,vc1,vc0) = */
/*    (1,1,3,0:vw1); (1,2,3,0:vw1); (1,3,3,0:vw1); (1,4,3,0:vw1) */
/******************************************/

/* calc coords, apply mask, and issue loads (if necessary) */
/* (d1,vc1,d0,vc0)=(1,3,1,0) */
_buffer_load_b64 v[8:9], v7, s[sgprSrdC:sgprSrdC+3], 0, offen offset:128,  nt // load C for beta calc
/* (d1,vc1,d0,vc0)=(1,3,2,0) */
_buffer_load_b64 v[12:13], v7, s[sgprSrdC:sgprSrdC+3], 0, offen offset:256,  nt // load C for beta calc
	;; [unrolled: 2-line block ×4, first 2 shown]
s_sleep 3 // optimization: sync and wait
s_barrier
v_accvgpr_read_b32 v[vgprValuC+10], acc43 // copy acc to vreg[128]
v_accvgpr_read_b32 v[vgprValuC+11], acc115 // copy acc to vreg[129]
v_accvgpr_read_b32 v[vgprValuC+14], acc47 // copy acc to vreg[130]
v_accvgpr_read_b32 v[vgprValuC+15], acc119 // copy acc to vreg[131]
v_accvgpr_read_b32 v[vgprValuC+18], acc51 // copy acc to vreg[132]
v_accvgpr_read_b32 v[vgprValuC+19], acc123 // copy acc to vreg[133]
v_accvgpr_read_b32 v[vgprValuC+22], acc55 // copy acc to vreg[134]
v_accvgpr_read_b32 v[vgprValuC+23], acc127 // copy acc to vreg[135]
s_nop 1                                            // 2 wait states required before reading vgpr

/* rC *= alpha batchElements=[(1, 1, 3, 0), (1, 2, 3, 0), (1, 3, 3, 0), (1, 4, 3, 0)] */
v_mov_b32 v24, v[vgprValuC+10]                     // store Cr
v_mul_f32 v[vgprValuC+10], s[sgprAlpha], v[vgprValuC+10] // *= alpha ( Cr = Ar * Cr)
_v_mac_f32 v[vgprValuC+10], -s[sgprAlpha+1], v[vgprValuC+11] // *= alpha ( Cr += -Ai * Ci )
v_mul_f32 v[vgprValuC+11], s[sgprAlpha], v[vgprValuC+11] // *= alpha ( Ci = Ar * Ci)
_v_mac_f32 v[vgprValuC+11], s[sgprAlpha+1], v24    // *= alpha ( Ci += Ai * Cr_backup )
v_mov_b32 v24, v[vgprValuC+14]                     // store Cr
v_mul_f32 v[vgprValuC+14], s[sgprAlpha], v[vgprValuC+14] // *= alpha ( Cr = Ar * Cr)
_v_mac_f32 v[vgprValuC+14], -s[sgprAlpha+1], v[vgprValuC+15] // *= alpha ( Cr += -Ai * Ci )
v_mul_f32 v[vgprValuC+15], s[sgprAlpha], v[vgprValuC+15] // *= alpha ( Ci = Ar * Ci)
_v_mac_f32 v[vgprValuC+15], s[sgprAlpha+1], v24    // *= alpha ( Ci += Ai * Cr_backup )
	;; [unrolled: 5-line block ×4, first 2 shown]

/* apply mask, calc new C and issue writes */

s_waitcnt vmcnt(3)                                 // wait C (interleaved) 3 = 4 - 0 + 0 - 1
_v_mac_f32 v[vgprValuC+10], v8, s[sgprBeta]        // finalSum Cr += old Cr * Br
_v_mac_f32 v[vgprValuC+10], v9, -s[sgprBeta+1]     // finalSum Cr += old Ci * -Bi
_v_mac_f32 v[vgprValuC+11], v9, s[sgprBeta]        // finalSum Ci += old Ci * Br
_v_mac_f32 v[vgprValuC+11], v8, s[sgprBeta+1]      // finalSum Ci += old Cr * Bi
_buffer_store_b64 v[10:11], v6, s[sgprSrdD:sgprSrdD+3], 0, offen, offset:128,  nt // store D

s_waitcnt vmcnt(3)                                 // wait C (interleaved) 3 = 4 - 1 + 1 - 1
_v_mac_f32 v[vgprValuC+14], v12, s[sgprBeta]       // finalSum Cr += old Cr * Br
_v_mac_f32 v[vgprValuC+14], v13, -s[sgprBeta+1]    // finalSum Cr += old Ci * -Bi
_v_mac_f32 v[vgprValuC+15], v13, s[sgprBeta]       // finalSum Ci += old Ci * Br
_v_mac_f32 v[vgprValuC+15], v12, s[sgprBeta+1]     // finalSum Ci += old Cr * Bi
_buffer_store_b64 v[14:15], v6, s[sgprSrdD:sgprSrdD+3], 0, offen, offset:256,  nt // store D

s_waitcnt vmcnt(3)                                 // wait C (interleaved) 3 = 4 - 2 + 2 - 1
_v_mac_f32 v[vgprValuC+18], v16, s[sgprBeta]       // finalSum Cr += old Cr * Br
_v_mac_f32 v[vgprValuC+18], v17, -s[sgprBeta+1]    // finalSum Cr += old Ci * -Bi
_v_mac_f32 v[vgprValuC+19], v17, s[sgprBeta]       // finalSum Ci += old Ci * Br
_v_mac_f32 v[vgprValuC+19], v16, s[sgprBeta+1]     // finalSum Ci += old Cr * Bi
	;; [unrolled: 7-line block ×3, first 2 shown]
_buffer_store_b64 v[22:23], v6, s[sgprSrdD:sgprSrdD+3], 0, offen, offset:512,  nt // store D
s_nop 0                                            // 1 wait state required when next inst writes vgprs held by previous dwordx4 store inst
/* optSingleColVgpr=1 optSharedColVgpr=0 optSGPRUsage=BufferLoad_Mask optSrdIncForRow=1 */
s_sleep 3 // optimization: sync and wait
s_barrier

/******************************************/
/* Global Write Alpha Beta Batch #17 (d1,d0,vc1,vc0) = */
/*    (1,5,3,0:vw1); (1,6,3,0:vw1); (1,7,3,0:vw1); (1,8,3,0:vw1) */
/******************************************/

/* calc coords, apply mask, and issue loads (if necessary) */
/* (d1,vc1,d0,vc0)=(1,3,5,0) */
_buffer_load_b64 v[8:9], v7, s[sgprSrdC:sgprSrdC+3], 0, offen offset:640,  nt // load C for beta calc
/* (d1,vc1,d0,vc0)=(1,3,6,0) */
_buffer_load_b64 v[12:13], v7, s[sgprSrdC:sgprSrdC+3], 0, offen offset:768,  nt // load C for beta calc
	;; [unrolled: 2-line block ×4, first 2 shown]
s_sleep 3 // optimization: sync and wait
s_barrier
v_accvgpr_read_b32 v[vgprValuC+10], acc59 // copy acc to vreg[136]
v_accvgpr_read_b32 v[vgprValuC+11], acc131 // copy acc to vreg[137]
v_accvgpr_read_b32 v[vgprValuC+14], acc63 // copy acc to vreg[138]
v_accvgpr_read_b32 v[vgprValuC+15], acc135 // copy acc to vreg[139]
v_accvgpr_read_b32 v[vgprValuC+18], acc67 // copy acc to vreg[140]
v_accvgpr_read_b32 v[vgprValuC+19], acc139 // copy acc to vreg[141]
v_accvgpr_read_b32 v[vgprValuC+22], acc71 // copy acc to vreg[142]
v_accvgpr_read_b32 v[vgprValuC+23], acc143 // copy acc to vreg[143]
s_nop 1                                            // 2 wait states required before reading vgpr

/* rC *= alpha batchElements=[(1, 5, 3, 0), (1, 6, 3, 0), (1, 7, 3, 0), (1, 8, 3, 0)] */
v_mov_b32 v24, v[vgprValuC+10]                     // store Cr
v_mul_f32 v[vgprValuC+10], s[sgprAlpha], v[vgprValuC+10] // *= alpha ( Cr = Ar * Cr)
_v_mac_f32 v[vgprValuC+10], -s[sgprAlpha+1], v[vgprValuC+11] // *= alpha ( Cr += -Ai * Ci )
v_mul_f32 v[vgprValuC+11], s[sgprAlpha], v[vgprValuC+11] // *= alpha ( Ci = Ar * Ci)
_v_mac_f32 v[vgprValuC+11], s[sgprAlpha+1], v24    // *= alpha ( Ci += Ai * Cr_backup )
v_mov_b32 v24, v[vgprValuC+14]                     // store Cr
v_mul_f32 v[vgprValuC+14], s[sgprAlpha], v[vgprValuC+14] // *= alpha ( Cr = Ar * Cr)
_v_mac_f32 v[vgprValuC+14], -s[sgprAlpha+1], v[vgprValuC+15] // *= alpha ( Cr += -Ai * Ci )
v_mul_f32 v[vgprValuC+15], s[sgprAlpha], v[vgprValuC+15] // *= alpha ( Ci = Ar * Ci)
_v_mac_f32 v[vgprValuC+15], s[sgprAlpha+1], v24    // *= alpha ( Ci += Ai * Cr_backup )
	;; [unrolled: 5-line block ×4, first 2 shown]

/* apply mask, calc new C and issue writes */

s_waitcnt vmcnt(3)                                 // wait C (interleaved) 3 = 4 - 0 + 0 - 1
_v_mac_f32 v[vgprValuC+10], v8, s[sgprBeta]        // finalSum Cr += old Cr * Br
_v_mac_f32 v[vgprValuC+10], v9, -s[sgprBeta+1]     // finalSum Cr += old Ci * -Bi
_v_mac_f32 v[vgprValuC+11], v9, s[sgprBeta]        // finalSum Ci += old Ci * Br
_v_mac_f32 v[vgprValuC+11], v8, s[sgprBeta+1]      // finalSum Ci += old Cr * Bi
_buffer_store_b64 v[10:11], v6, s[sgprSrdD:sgprSrdD+3], 0, offen, offset:640,  nt // store D

s_waitcnt vmcnt(3)                                 // wait C (interleaved) 3 = 4 - 1 + 1 - 1
_v_mac_f32 v[vgprValuC+14], v12, s[sgprBeta]       // finalSum Cr += old Cr * Br
_v_mac_f32 v[vgprValuC+14], v13, -s[sgprBeta+1]    // finalSum Cr += old Ci * -Bi
_v_mac_f32 v[vgprValuC+15], v13, s[sgprBeta]       // finalSum Ci += old Ci * Br
_v_mac_f32 v[vgprValuC+15], v12, s[sgprBeta+1]     // finalSum Ci += old Cr * Bi
_buffer_store_b64 v[14:15], v6, s[sgprSrdD:sgprSrdD+3], 0, offen, offset:768,  nt // store D

s_waitcnt vmcnt(3)                                 // wait C (interleaved) 3 = 4 - 2 + 2 - 1
_v_mac_f32 v[vgprValuC+18], v16, s[sgprBeta]       // finalSum Cr += old Cr * Br
_v_mac_f32 v[vgprValuC+18], v17, -s[sgprBeta+1]    // finalSum Cr += old Ci * -Bi
_v_mac_f32 v[vgprValuC+19], v17, s[sgprBeta]       // finalSum Ci += old Ci * Br
_v_mac_f32 v[vgprValuC+19], v16, s[sgprBeta+1]     // finalSum Ci += old Cr * Bi
	;; [unrolled: 7-line block ×3, first 2 shown]
_buffer_store_b64 v[22:23], v6, s[sgprSrdD:sgprSrdD+3], 0, offen, offset:1024,  nt // store D
s_nop 0                                            // 1 wait state required when next inst writes vgprs held by previous dwordx4 store inst
s_branch label_GW_End_44                           // jump to end
GW_B1_E1_43:

/* edge=1, allocate 6 sgpr. perBatchTmpS=4 perBatchMaskS=2 perElementMaskS=0 elementsPerBatch=4 */
/* optSingleColVgpr=0 optSharedColVgpr=0 optSGPRUsage=BufferLoad_Edge_Mask optSrdIncForRow=0 */
s_sleep 3 // optimization: sync and wait
s_barrier

/******************************************/
/* Global Write Alpha Beta Edge Batch #0 (d1,d0,vc1,vc0) = */
/*    (0,0,0,0:vw1); (0,1,0,0:vw1); (0,2,0,0:vw1); (0,3,0,0:vw1) */
/******************************************/

/* calc coords, apply mask, and issue loads (if necessary) */
/* (d1,vc1,d0,vc0)=(0,0,0,0) */
v_cmp_lt_u32 s[56:57], v0, s[sgprSizeI]            // coord0 < size0
v_cmp_lt_u32 s[60:61], v1, s[sgprSizeJ]            // coord1 < size1
s_and_b64 s[60:61], s[56:57], s[60:61]             // in0 && in1
_v_add_lshl_u32 v6, v2, v0, 0x3                    // scaleToBpe: accumulate d0 lower and *= bpe into Cin addr
v_cndmask_b32 v6, -1, v6, s[60:61]                 // LDC clip if OOB. offset
_buffer_load_b64 v[8:9], v6, s[sgprSrdC:sgprSrdC+3], 0, offen offset:0,  nt // load C for beta calc
_v_add_lshl_u32 v6, v3, v0, 0x3                    // scaleToBpe: accumulate d0 lower and *= bpe into Cin addr
v_cndmask_b32 v6, -1, v6, s[60:61]                 // LDD clip if OOB. offset
/* (d1,vc1,d0,vc0)=(0,0,1,0) */
_v_add_co_u32 v4, vcc, v0, 16                      // coord0.1: coord0 += d0*sg0*VW + vc0
v_cmp_lt_u32 s[56:57], v4, s[sgprSizeI]            // coord0 < size0
v_cmp_lt_u32 s[60:61], v1, s[sgprSizeJ]            // coord1 < size1
s_and_b64 s[60:61], s[56:57], s[60:61]             // in0 && in1
_v_add_lshl_u32 v7, v2, v4, 0x3                    // scaleToBpe: accumulate d0 lower and *= bpe into Cin addr
v_cndmask_b32 v7, -1, v7, s[60:61]                 // LDC clip if OOB. offset
_buffer_load_b64 v[12:13], v7, s[sgprSrdC:sgprSrdC+3], 0, offen offset:0,  nt // load C for beta calc
_v_add_lshl_u32 v7, v3, v4, 0x3                    // scaleToBpe: accumulate d0 lower and *= bpe into Cin addr
v_cndmask_b32 v7, -1, v7, s[60:61]                 // LDD clip if OOB. offset
/* (d1,vc1,d0,vc0)=(0,0,2,0) */
_v_add_co_u32 v4, vcc, v0, 32                      // coord0.1: coord0 += d0*sg0*VW + vc0
v_cmp_lt_u32 s[56:57], v4, s[sgprSizeI]            // coord0 < size0
v_cmp_lt_u32 s[60:61], v1, s[sgprSizeJ]            // coord1 < size1
s_and_b64 s[60:61], s[56:57], s[60:61]             // in0 && in1
_v_add_lshl_u32 v16, v2, v4, 0x3                   // scaleToBpe: accumulate d0 lower and *= bpe into Cin addr
v_cndmask_b32 v16, -1, v16, s[60:61]               // LDC clip if OOB. offset
_buffer_load_b64 v[18:19], v16, s[sgprSrdC:sgprSrdC+3], 0, offen offset:0,  nt // load C for beta calc
_v_add_lshl_u32 v16, v3, v4, 0x3                   // scaleToBpe: accumulate d0 lower and *= bpe into Cin addr
v_cndmask_b32 v16, -1, v16, s[60:61]               // LDD clip if OOB. offset
/* (d1,vc1,d0,vc0)=(0,0,3,0) */
_v_add_co_u32 v4, vcc, v0, 48                      // coord0.1: coord0 += d0*sg0*VW + vc0
v_cmp_lt_u32 s[56:57], v4, s[sgprSizeI]            // coord0 < size0
v_cmp_lt_u32 s[60:61], v1, s[sgprSizeJ]            // coord1 < size1
s_and_b64 s[60:61], s[56:57], s[60:61]             // in0 && in1
_v_add_lshl_u32 v17, v2, v4, 0x3                   // scaleToBpe: accumulate d0 lower and *= bpe into Cin addr
v_cndmask_b32 v17, -1, v17, s[60:61]               // LDC clip if OOB. offset
_buffer_load_b64 v[22:23], v17, s[sgprSrdC:sgprSrdC+3], 0, offen offset:0,  nt // load C for beta calc
_v_add_lshl_u32 v17, v3, v4, 0x3                   // scaleToBpe: accumulate d0 lower and *= bpe into Cin addr
v_cndmask_b32 v17, -1, v17, s[60:61]               // LDD clip if OOB. offset
s_sleep 3 // optimization: sync and wait
s_barrier
v_accvgpr_read_b32 v[vgprValuC+10], acc0 // copy acc to vreg[0]
v_accvgpr_read_b32 v[vgprValuC+11], acc72 // copy acc to vreg[1]
v_accvgpr_read_b32 v[vgprValuC+14], acc4 // copy acc to vreg[2]
v_accvgpr_read_b32 v[vgprValuC+15], acc76 // copy acc to vreg[3]
v_accvgpr_read_b32 v[vgprValuC+20], acc8 // copy acc to vreg[4]
v_accvgpr_read_b32 v[vgprValuC+21], acc80 // copy acc to vreg[5]
v_accvgpr_read_b32 v[vgprValuC+24], acc12 // copy acc to vreg[6]
v_accvgpr_read_b32 v[vgprValuC+25], acc84 // copy acc to vreg[7]
s_nop 1                                            // 2 wait states required before reading vgpr

/* rC *= alpha batchElements=[(0, 0, 0, 0), (0, 1, 0, 0), (0, 2, 0, 0), (0, 3, 0, 0)] */
v_mov_b32 v26, v[vgprValuC+10]                     // store Cr
v_mul_f32 v[vgprValuC+10], s[sgprAlpha], v[vgprValuC+10] // *= alpha ( Cr = Ar * Cr)
_v_mac_f32 v[vgprValuC+10], -s[sgprAlpha+1], v[vgprValuC+11] // *= alpha ( Cr += -Ai * Ci )
v_mul_f32 v[vgprValuC+11], s[sgprAlpha], v[vgprValuC+11] // *= alpha ( Ci = Ar * Ci)
_v_mac_f32 v[vgprValuC+11], s[sgprAlpha+1], v26    // *= alpha ( Ci += Ai * Cr_backup )
v_mov_b32 v26, v[vgprValuC+14]                     // store Cr
v_mul_f32 v[vgprValuC+14], s[sgprAlpha], v[vgprValuC+14] // *= alpha ( Cr = Ar * Cr)
_v_mac_f32 v[vgprValuC+14], -s[sgprAlpha+1], v[vgprValuC+15] // *= alpha ( Cr += -Ai * Ci )
v_mul_f32 v[vgprValuC+15], s[sgprAlpha], v[vgprValuC+15] // *= alpha ( Ci = Ar * Ci)
_v_mac_f32 v[vgprValuC+15], s[sgprAlpha+1], v26    // *= alpha ( Ci += Ai * Cr_backup )
	;; [unrolled: 5-line block ×4, first 2 shown]
s_waitcnt vmcnt(0)                                 // wait C

/* apply mask, calc new C and issue writes */
_v_mac_f32 v[vgprValuC+10], v8, s[sgprBeta]        // finalSum Cr += old Cr * Br
_v_mac_f32 v[vgprValuC+10], v9, -s[sgprBeta+1]     // finalSum Cr += old Ci * -Bi
_v_mac_f32 v[vgprValuC+11], v9, s[sgprBeta]        // finalSum Ci += old Ci * Br
_v_mac_f32 v[vgprValuC+11], v8, s[sgprBeta+1]      // finalSum Ci += old Cr * Bi
_buffer_store_b64 v[10:11], v6, s[sgprSrdD:sgprSrdD+3], 0, offen, offset:0,  nt // store D
_v_mac_f32 v[vgprValuC+14], v12, s[sgprBeta]       // finalSum Cr += old Cr * Br
_v_mac_f32 v[vgprValuC+14], v13, -s[sgprBeta+1]    // finalSum Cr += old Ci * -Bi
_v_mac_f32 v[vgprValuC+15], v13, s[sgprBeta]       // finalSum Ci += old Ci * Br
_v_mac_f32 v[vgprValuC+15], v12, s[sgprBeta+1]     // finalSum Ci += old Cr * Bi
_buffer_store_b64 v[14:15], v7, s[sgprSrdD:sgprSrdD+3], 0, offen, offset:0,  nt // store D
_v_mac_f32 v[vgprValuC+20], v18, s[sgprBeta]       // finalSum Cr += old Cr * Br
_v_mac_f32 v[vgprValuC+20], v19, -s[sgprBeta+1]    // finalSum Cr += old Ci * -Bi
_v_mac_f32 v[vgprValuC+21], v19, s[sgprBeta]       // finalSum Ci += old Ci * Br
_v_mac_f32 v[vgprValuC+21], v18, s[sgprBeta+1]     // finalSum Ci += old Cr * Bi
	;; [unrolled: 5-line block ×3, first 2 shown]
_buffer_store_b64 v[24:25], v17, s[sgprSrdD:sgprSrdD+3], 0, offen, offset:0,  nt // store D
s_nop 0                                            // 1 wait state required when next inst writes vgprs held by previous dwordx4 store inst
/* optSingleColVgpr=0 optSharedColVgpr=0 optSGPRUsage=BufferLoad_Edge_Mask optSrdIncForRow=0 */
s_sleep 3 // optimization: sync and wait
s_barrier

/******************************************/
/* Global Write Alpha Beta Edge Batch #1 (d1,d0,vc1,vc0) = */
/*    (0,4,0,0:vw1); (0,5,0,0:vw1); (0,6,0,0:vw1); (0,7,0,0:vw1) */
/******************************************/

/* calc coords, apply mask, and issue loads (if necessary) */
/* (d1,vc1,d0,vc0)=(0,0,4,0) */
_v_add_co_u32 v4, vcc, v0, 64                      // coord0.1: coord0 += d0*sg0*VW + vc0
v_cmp_lt_u32 s[56:57], v4, s[sgprSizeI]            // coord0 < size0
v_cmp_lt_u32 s[60:61], v1, s[sgprSizeJ]            // coord1 < size1
s_and_b64 s[60:61], s[56:57], s[60:61]             // in0 && in1
_v_add_lshl_u32 v6, v2, v4, 0x3                    // scaleToBpe: accumulate d0 lower and *= bpe into Cin addr
v_cndmask_b32 v6, -1, v6, s[60:61]                 // LDC clip if OOB. offset
_buffer_load_b64 v[8:9], v6, s[sgprSrdC:sgprSrdC+3], 0, offen offset:0,  nt // load C for beta calc
_v_add_lshl_u32 v6, v3, v4, 0x3                    // scaleToBpe: accumulate d0 lower and *= bpe into Cin addr
v_cndmask_b32 v6, -1, v6, s[60:61]                 // LDD clip if OOB. offset
/* (d1,vc1,d0,vc0)=(0,0,5,0) */
s_mov_b32 s56, 80                                  // coordOffset0 d0=5 vc0=0
_v_add_co_u32 v4, vcc, v0, s56                     // coord0.2: coord0 += d0*sg0*VW + vc0
v_cmp_lt_u32 s[56:57], v4, s[sgprSizeI]            // coord0 < size0
v_cmp_lt_u32 s[60:61], v1, s[sgprSizeJ]            // coord1 < size1
s_and_b64 s[60:61], s[56:57], s[60:61]             // in0 && in1
_v_add_lshl_u32 v7, v2, v4, 0x3                    // scaleToBpe: accumulate d0 lower and *= bpe into Cin addr
v_cndmask_b32 v7, -1, v7, s[60:61]                 // LDC clip if OOB. offset
_buffer_load_b64 v[12:13], v7, s[sgprSrdC:sgprSrdC+3], 0, offen offset:0,  nt // load C for beta calc
_v_add_lshl_u32 v7, v3, v4, 0x3                    // scaleToBpe: accumulate d0 lower and *= bpe into Cin addr
v_cndmask_b32 v7, -1, v7, s[60:61]                 // LDD clip if OOB. offset
/* (d1,vc1,d0,vc0)=(0,0,6,0) */
s_mov_b32 s56, 96                                  // coordOffset0 d0=6 vc0=0
_v_add_co_u32 v4, vcc, v0, s56                     // coord0.2: coord0 += d0*sg0*VW + vc0
v_cmp_lt_u32 s[56:57], v4, s[sgprSizeI]            // coord0 < size0
v_cmp_lt_u32 s[60:61], v1, s[sgprSizeJ]            // coord1 < size1
s_and_b64 s[60:61], s[56:57], s[60:61]             // in0 && in1
_v_add_lshl_u32 v16, v2, v4, 0x3                   // scaleToBpe: accumulate d0 lower and *= bpe into Cin addr
v_cndmask_b32 v16, -1, v16, s[60:61]               // LDC clip if OOB. offset
_buffer_load_b64 v[18:19], v16, s[sgprSrdC:sgprSrdC+3], 0, offen offset:0,  nt // load C for beta calc
_v_add_lshl_u32 v16, v3, v4, 0x3                   // scaleToBpe: accumulate d0 lower and *= bpe into Cin addr
v_cndmask_b32 v16, -1, v16, s[60:61]               // LDD clip if OOB. offset
/* (d1,vc1,d0,vc0)=(0,0,7,0) */
s_mov_b32 s56, 112                                 // coordOffset0 d0=7 vc0=0
_v_add_co_u32 v4, vcc, v0, s56                     // coord0.2: coord0 += d0*sg0*VW + vc0
v_cmp_lt_u32 s[56:57], v4, s[sgprSizeI]            // coord0 < size0
v_cmp_lt_u32 s[60:61], v1, s[sgprSizeJ]            // coord1 < size1
s_and_b64 s[60:61], s[56:57], s[60:61]             // in0 && in1
_v_add_lshl_u32 v17, v2, v4, 0x3                   // scaleToBpe: accumulate d0 lower and *= bpe into Cin addr
v_cndmask_b32 v17, -1, v17, s[60:61]               // LDC clip if OOB. offset
_buffer_load_b64 v[22:23], v17, s[sgprSrdC:sgprSrdC+3], 0, offen offset:0,  nt // load C for beta calc
_v_add_lshl_u32 v17, v3, v4, 0x3                   // scaleToBpe: accumulate d0 lower and *= bpe into Cin addr
v_cndmask_b32 v17, -1, v17, s[60:61]               // LDD clip if OOB. offset
s_sleep 3 // optimization: sync and wait
s_barrier
v_accvgpr_read_b32 v[vgprValuC+10], acc16 // copy acc to vreg[8]
v_accvgpr_read_b32 v[vgprValuC+11], acc88 // copy acc to vreg[9]
v_accvgpr_read_b32 v[vgprValuC+14], acc20 // copy acc to vreg[10]
v_accvgpr_read_b32 v[vgprValuC+15], acc92 // copy acc to vreg[11]
v_accvgpr_read_b32 v[vgprValuC+20], acc24 // copy acc to vreg[12]
v_accvgpr_read_b32 v[vgprValuC+21], acc96 // copy acc to vreg[13]
v_accvgpr_read_b32 v[vgprValuC+24], acc28 // copy acc to vreg[14]
v_accvgpr_read_b32 v[vgprValuC+25], acc100 // copy acc to vreg[15]
s_nop 1                                            // 2 wait states required before reading vgpr

/* rC *= alpha batchElements=[(0, 4, 0, 0), (0, 5, 0, 0), (0, 6, 0, 0), (0, 7, 0, 0)] */
v_mov_b32 v26, v[vgprValuC+10]                     // store Cr
v_mul_f32 v[vgprValuC+10], s[sgprAlpha], v[vgprValuC+10] // *= alpha ( Cr = Ar * Cr)
_v_mac_f32 v[vgprValuC+10], -s[sgprAlpha+1], v[vgprValuC+11] // *= alpha ( Cr += -Ai * Ci )
v_mul_f32 v[vgprValuC+11], s[sgprAlpha], v[vgprValuC+11] // *= alpha ( Ci = Ar * Ci)
_v_mac_f32 v[vgprValuC+11], s[sgprAlpha+1], v26    // *= alpha ( Ci += Ai * Cr_backup )
v_mov_b32 v26, v[vgprValuC+14]                     // store Cr
v_mul_f32 v[vgprValuC+14], s[sgprAlpha], v[vgprValuC+14] // *= alpha ( Cr = Ar * Cr)
_v_mac_f32 v[vgprValuC+14], -s[sgprAlpha+1], v[vgprValuC+15] // *= alpha ( Cr += -Ai * Ci )
v_mul_f32 v[vgprValuC+15], s[sgprAlpha], v[vgprValuC+15] // *= alpha ( Ci = Ar * Ci)
_v_mac_f32 v[vgprValuC+15], s[sgprAlpha+1], v26    // *= alpha ( Ci += Ai * Cr_backup )
	;; [unrolled: 5-line block ×4, first 2 shown]
s_waitcnt vmcnt(0)                                 // wait C

/* apply mask, calc new C and issue writes */
_v_mac_f32 v[vgprValuC+10], v8, s[sgprBeta]        // finalSum Cr += old Cr * Br
_v_mac_f32 v[vgprValuC+10], v9, -s[sgprBeta+1]     // finalSum Cr += old Ci * -Bi
_v_mac_f32 v[vgprValuC+11], v9, s[sgprBeta]        // finalSum Ci += old Ci * Br
_v_mac_f32 v[vgprValuC+11], v8, s[sgprBeta+1]      // finalSum Ci += old Cr * Bi
_buffer_store_b64 v[10:11], v6, s[sgprSrdD:sgprSrdD+3], 0, offen, offset:0,  nt // store D
_v_mac_f32 v[vgprValuC+14], v12, s[sgprBeta]       // finalSum Cr += old Cr * Br
_v_mac_f32 v[vgprValuC+14], v13, -s[sgprBeta+1]    // finalSum Cr += old Ci * -Bi
_v_mac_f32 v[vgprValuC+15], v13, s[sgprBeta]       // finalSum Ci += old Ci * Br
_v_mac_f32 v[vgprValuC+15], v12, s[sgprBeta+1]     // finalSum Ci += old Cr * Bi
_buffer_store_b64 v[14:15], v7, s[sgprSrdD:sgprSrdD+3], 0, offen, offset:0,  nt // store D
_v_mac_f32 v[vgprValuC+20], v18, s[sgprBeta]       // finalSum Cr += old Cr * Br
_v_mac_f32 v[vgprValuC+20], v19, -s[sgprBeta+1]    // finalSum Cr += old Ci * -Bi
_v_mac_f32 v[vgprValuC+21], v19, s[sgprBeta]       // finalSum Ci += old Ci * Br
_v_mac_f32 v[vgprValuC+21], v18, s[sgprBeta+1]     // finalSum Ci += old Cr * Bi
	;; [unrolled: 5-line block ×3, first 2 shown]
_buffer_store_b64 v[24:25], v17, s[sgprSrdD:sgprSrdD+3], 0, offen, offset:0,  nt // store D
s_nop 0                                            // 1 wait state required when next inst writes vgprs held by previous dwordx4 store inst
/* optSingleColVgpr=0 optSharedColVgpr=0 optSGPRUsage=BufferLoad_Edge_Mask optSrdIncForRow=0 */
s_sleep 3 // optimization: sync and wait
s_barrier

/******************************************/
/* Global Write Alpha Beta Edge Batch #2 (d1,d0,vc1,vc0) = */
/*    (0,8,0,0:vw1); (0,0,1,0:vw1); (0,1,1,0:vw1); (0,2,1,0:vw1) */
/******************************************/

/* calc coords, apply mask, and issue loads (if necessary) */
/* (d1,vc1,d0,vc0)=(0,0,8,0) */
s_mov_b32 s56, 128                                 // coordOffset0 d0=8 vc0=0
_v_add_co_u32 v4, vcc, v0, s56                     // coord0.2: coord0 += d0*sg0*VW + vc0
v_cmp_lt_u32 s[56:57], v4, s[sgprSizeI]            // coord0 < size0
v_cmp_lt_u32 s[60:61], v1, s[sgprSizeJ]            // coord1 < size1
s_and_b64 s[60:61], s[56:57], s[60:61]             // in0 && in1
_v_add_lshl_u32 v6, v2, v4, 0x3                    // scaleToBpe: accumulate d0 lower and *= bpe into Cin addr
v_cndmask_b32 v6, -1, v6, s[60:61]                 // LDC clip if OOB. offset
_buffer_load_b64 v[8:9], v6, s[sgprSrdC:sgprSrdC+3], 0, offen offset:0,  nt // load C for beta calc
_v_add_lshl_u32 v6, v3, v4, 0x3                    // scaleToBpe: accumulate d0 lower and *= bpe into Cin addr
v_cndmask_b32 v6, -1, v6, s[60:61]                 // LDD clip if OOB. offset
/* (d1,vc1,d0,vc0)=(0,1,0,0) */
_v_add_co_u32 v1, vcc, v1, 1                       // coord1.1: coord1Vgpr += d1*sg1*VW + vc1

/* Fix for UseInitialStridesCD, emitAddressSetupCode */
_v_add_u32 v2, v2, s[sgprStrideC1J]                // ROWINC- Move cinRowPtr to next row
_v_add_u32 v3, v3, s[sgprStrideD1J]                // Move coutRowPtr to next row
v_cmp_lt_u32 s[56:57], v0, s[sgprSizeI]            // coord0 < size0
v_cmp_lt_u32 s[60:61], v1, s[sgprSizeJ]            // coord1 < size1
s_and_b64 s[60:61], s[56:57], s[60:61]             // in0 && in1
_v_add_lshl_u32 v7, v2, v0, 0x3                    // scaleToBpe: accumulate d0 lower and *= bpe into Cin addr
v_cndmask_b32 v7, -1, v7, s[60:61]                 // LDC clip if OOB. offset
_buffer_load_b64 v[12:13], v7, s[sgprSrdC:sgprSrdC+3], 0, offen offset:0,  nt // load C for beta calc
_v_add_lshl_u32 v7, v3, v0, 0x3                    // scaleToBpe: accumulate d0 lower and *= bpe into Cin addr
v_cndmask_b32 v7, -1, v7, s[60:61]                 // LDD clip if OOB. offset
/* (d1,vc1,d0,vc0)=(0,1,1,0) */
_v_add_co_u32 v4, vcc, v0, 16                      // coord0.1: coord0 += d0*sg0*VW + vc0
v_cmp_lt_u32 s[56:57], v4, s[sgprSizeI]            // coord0 < size0
v_cmp_lt_u32 s[60:61], v1, s[sgprSizeJ]            // coord1 < size1
s_and_b64 s[60:61], s[56:57], s[60:61]             // in0 && in1
_v_add_lshl_u32 v16, v2, v4, 0x3                   // scaleToBpe: accumulate d0 lower and *= bpe into Cin addr
v_cndmask_b32 v16, -1, v16, s[60:61]               // LDC clip if OOB. offset
_buffer_load_b64 v[18:19], v16, s[sgprSrdC:sgprSrdC+3], 0, offen offset:0,  nt // load C for beta calc
_v_add_lshl_u32 v16, v3, v4, 0x3                   // scaleToBpe: accumulate d0 lower and *= bpe into Cin addr
v_cndmask_b32 v16, -1, v16, s[60:61]               // LDD clip if OOB. offset
/* (d1,vc1,d0,vc0)=(0,1,2,0) */
_v_add_co_u32 v4, vcc, v0, 32                      // coord0.1: coord0 += d0*sg0*VW + vc0
v_cmp_lt_u32 s[56:57], v4, s[sgprSizeI]            // coord0 < size0
v_cmp_lt_u32 s[60:61], v1, s[sgprSizeJ]            // coord1 < size1
s_and_b64 s[60:61], s[56:57], s[60:61]             // in0 && in1
_v_add_lshl_u32 v17, v2, v4, 0x3                   // scaleToBpe: accumulate d0 lower and *= bpe into Cin addr
v_cndmask_b32 v17, -1, v17, s[60:61]               // LDC clip if OOB. offset
_buffer_load_b64 v[22:23], v17, s[sgprSrdC:sgprSrdC+3], 0, offen offset:0,  nt // load C for beta calc
_v_add_lshl_u32 v17, v3, v4, 0x3                   // scaleToBpe: accumulate d0 lower and *= bpe into Cin addr
v_cndmask_b32 v17, -1, v17, s[60:61]               // LDD clip if OOB. offset
s_sleep 3 // optimization: sync and wait
s_barrier
v_accvgpr_read_b32 v[vgprValuC+10], acc32 // copy acc to vreg[16]
v_accvgpr_read_b32 v[vgprValuC+11], acc104 // copy acc to vreg[17]
v_accvgpr_read_b32 v[vgprValuC+14], acc1 // copy acc to vreg[18]
v_accvgpr_read_b32 v[vgprValuC+15], acc73 // copy acc to vreg[19]
v_accvgpr_read_b32 v[vgprValuC+20], acc5 // copy acc to vreg[20]
v_accvgpr_read_b32 v[vgprValuC+21], acc77 // copy acc to vreg[21]
v_accvgpr_read_b32 v[vgprValuC+24], acc9 // copy acc to vreg[22]
v_accvgpr_read_b32 v[vgprValuC+25], acc81 // copy acc to vreg[23]
s_nop 1                                            // 2 wait states required before reading vgpr

/* rC *= alpha batchElements=[(0, 8, 0, 0), (0, 0, 1, 0), (0, 1, 1, 0), (0, 2, 1, 0)] */
v_mov_b32 v26, v[vgprValuC+10]                     // store Cr
v_mul_f32 v[vgprValuC+10], s[sgprAlpha], v[vgprValuC+10] // *= alpha ( Cr = Ar * Cr)
_v_mac_f32 v[vgprValuC+10], -s[sgprAlpha+1], v[vgprValuC+11] // *= alpha ( Cr += -Ai * Ci )
v_mul_f32 v[vgprValuC+11], s[sgprAlpha], v[vgprValuC+11] // *= alpha ( Ci = Ar * Ci)
_v_mac_f32 v[vgprValuC+11], s[sgprAlpha+1], v26    // *= alpha ( Ci += Ai * Cr_backup )
v_mov_b32 v26, v[vgprValuC+14]                     // store Cr
v_mul_f32 v[vgprValuC+14], s[sgprAlpha], v[vgprValuC+14] // *= alpha ( Cr = Ar * Cr)
_v_mac_f32 v[vgprValuC+14], -s[sgprAlpha+1], v[vgprValuC+15] // *= alpha ( Cr += -Ai * Ci )
v_mul_f32 v[vgprValuC+15], s[sgprAlpha], v[vgprValuC+15] // *= alpha ( Ci = Ar * Ci)
_v_mac_f32 v[vgprValuC+15], s[sgprAlpha+1], v26    // *= alpha ( Ci += Ai * Cr_backup )
	;; [unrolled: 5-line block ×4, first 2 shown]
s_waitcnt vmcnt(0)                                 // wait C

/* apply mask, calc new C and issue writes */
_v_mac_f32 v[vgprValuC+10], v8, s[sgprBeta]        // finalSum Cr += old Cr * Br
_v_mac_f32 v[vgprValuC+10], v9, -s[sgprBeta+1]     // finalSum Cr += old Ci * -Bi
_v_mac_f32 v[vgprValuC+11], v9, s[sgprBeta]        // finalSum Ci += old Ci * Br
_v_mac_f32 v[vgprValuC+11], v8, s[sgprBeta+1]      // finalSum Ci += old Cr * Bi
_buffer_store_b64 v[10:11], v6, s[sgprSrdD:sgprSrdD+3], 0, offen, offset:0,  nt // store D
_v_mac_f32 v[vgprValuC+14], v12, s[sgprBeta]       // finalSum Cr += old Cr * Br
_v_mac_f32 v[vgprValuC+14], v13, -s[sgprBeta+1]    // finalSum Cr += old Ci * -Bi
_v_mac_f32 v[vgprValuC+15], v13, s[sgprBeta]       // finalSum Ci += old Ci * Br
_v_mac_f32 v[vgprValuC+15], v12, s[sgprBeta+1]     // finalSum Ci += old Cr * Bi
_buffer_store_b64 v[14:15], v7, s[sgprSrdD:sgprSrdD+3], 0, offen, offset:0,  nt // store D
_v_mac_f32 v[vgprValuC+20], v18, s[sgprBeta]       // finalSum Cr += old Cr * Br
_v_mac_f32 v[vgprValuC+20], v19, -s[sgprBeta+1]    // finalSum Cr += old Ci * -Bi
_v_mac_f32 v[vgprValuC+21], v19, s[sgprBeta]       // finalSum Ci += old Ci * Br
_v_mac_f32 v[vgprValuC+21], v18, s[sgprBeta+1]     // finalSum Ci += old Cr * Bi
	;; [unrolled: 5-line block ×3, first 2 shown]
_buffer_store_b64 v[24:25], v17, s[sgprSrdD:sgprSrdD+3], 0, offen, offset:0,  nt // store D
s_nop 0                                            // 1 wait state required when next inst writes vgprs held by previous dwordx4 store inst
/* optSingleColVgpr=0 optSharedColVgpr=0 optSGPRUsage=BufferLoad_Edge_Mask optSrdIncForRow=0 */
s_sleep 3 // optimization: sync and wait
s_barrier

/******************************************/
/* Global Write Alpha Beta Edge Batch #3 (d1,d0,vc1,vc0) = */
/*    (0,3,1,0:vw1); (0,4,1,0:vw1); (0,5,1,0:vw1); (0,6,1,0:vw1) */
/******************************************/

/* calc coords, apply mask, and issue loads (if necessary) */
/* (d1,vc1,d0,vc0)=(0,1,3,0) */
_v_add_co_u32 v4, vcc, v0, 48                      // coord0.1: coord0 += d0*sg0*VW + vc0
v_cmp_lt_u32 s[56:57], v4, s[sgprSizeI]            // coord0 < size0
v_cmp_lt_u32 s[60:61], v1, s[sgprSizeJ]            // coord1 < size1
s_and_b64 s[60:61], s[56:57], s[60:61]             // in0 && in1
_v_add_lshl_u32 v6, v2, v4, 0x3                    // scaleToBpe: accumulate d0 lower and *= bpe into Cin addr
v_cndmask_b32 v6, -1, v6, s[60:61]                 // LDC clip if OOB. offset
_buffer_load_b64 v[8:9], v6, s[sgprSrdC:sgprSrdC+3], 0, offen offset:0,  nt // load C for beta calc
_v_add_lshl_u32 v6, v3, v4, 0x3                    // scaleToBpe: accumulate d0 lower and *= bpe into Cin addr
v_cndmask_b32 v6, -1, v6, s[60:61]                 // LDD clip if OOB. offset
/* (d1,vc1,d0,vc0)=(0,1,4,0) */
_v_add_co_u32 v4, vcc, v0, 64                      // coord0.1: coord0 += d0*sg0*VW + vc0
v_cmp_lt_u32 s[56:57], v4, s[sgprSizeI]            // coord0 < size0
v_cmp_lt_u32 s[60:61], v1, s[sgprSizeJ]            // coord1 < size1
s_and_b64 s[60:61], s[56:57], s[60:61]             // in0 && in1
_v_add_lshl_u32 v7, v2, v4, 0x3                    // scaleToBpe: accumulate d0 lower and *= bpe into Cin addr
v_cndmask_b32 v7, -1, v7, s[60:61]                 // LDC clip if OOB. offset
_buffer_load_b64 v[12:13], v7, s[sgprSrdC:sgprSrdC+3], 0, offen offset:0,  nt // load C for beta calc
_v_add_lshl_u32 v7, v3, v4, 0x3                    // scaleToBpe: accumulate d0 lower and *= bpe into Cin addr
v_cndmask_b32 v7, -1, v7, s[60:61]                 // LDD clip if OOB. offset
/* (d1,vc1,d0,vc0)=(0,1,5,0) */
s_mov_b32 s56, 80                                  // coordOffset0 d0=5 vc0=0
_v_add_co_u32 v4, vcc, v0, s56                     // coord0.2: coord0 += d0*sg0*VW + vc0
v_cmp_lt_u32 s[56:57], v4, s[sgprSizeI]            // coord0 < size0
v_cmp_lt_u32 s[60:61], v1, s[sgprSizeJ]            // coord1 < size1
s_and_b64 s[60:61], s[56:57], s[60:61]             // in0 && in1
_v_add_lshl_u32 v16, v2, v4, 0x3                   // scaleToBpe: accumulate d0 lower and *= bpe into Cin addr
v_cndmask_b32 v16, -1, v16, s[60:61]               // LDC clip if OOB. offset
_buffer_load_b64 v[18:19], v16, s[sgprSrdC:sgprSrdC+3], 0, offen offset:0,  nt // load C for beta calc
_v_add_lshl_u32 v16, v3, v4, 0x3                   // scaleToBpe: accumulate d0 lower and *= bpe into Cin addr
v_cndmask_b32 v16, -1, v16, s[60:61]               // LDD clip if OOB. offset
/* (d1,vc1,d0,vc0)=(0,1,6,0) */
s_mov_b32 s56, 96                                  // coordOffset0 d0=6 vc0=0
_v_add_co_u32 v4, vcc, v0, s56                     // coord0.2: coord0 += d0*sg0*VW + vc0
v_cmp_lt_u32 s[56:57], v4, s[sgprSizeI]            // coord0 < size0
v_cmp_lt_u32 s[60:61], v1, s[sgprSizeJ]            // coord1 < size1
s_and_b64 s[60:61], s[56:57], s[60:61]             // in0 && in1
_v_add_lshl_u32 v17, v2, v4, 0x3                   // scaleToBpe: accumulate d0 lower and *= bpe into Cin addr
v_cndmask_b32 v17, -1, v17, s[60:61]               // LDC clip if OOB. offset
_buffer_load_b64 v[22:23], v17, s[sgprSrdC:sgprSrdC+3], 0, offen offset:0,  nt // load C for beta calc
_v_add_lshl_u32 v17, v3, v4, 0x3                   // scaleToBpe: accumulate d0 lower and *= bpe into Cin addr
v_cndmask_b32 v17, -1, v17, s[60:61]               // LDD clip if OOB. offset
s_sleep 3 // optimization: sync and wait
s_barrier
v_accvgpr_read_b32 v[vgprValuC+10], acc13 // copy acc to vreg[24]
v_accvgpr_read_b32 v[vgprValuC+11], acc85 // copy acc to vreg[25]
v_accvgpr_read_b32 v[vgprValuC+14], acc17 // copy acc to vreg[26]
v_accvgpr_read_b32 v[vgprValuC+15], acc89 // copy acc to vreg[27]
v_accvgpr_read_b32 v[vgprValuC+20], acc21 // copy acc to vreg[28]
v_accvgpr_read_b32 v[vgprValuC+21], acc93 // copy acc to vreg[29]
v_accvgpr_read_b32 v[vgprValuC+24], acc25 // copy acc to vreg[30]
v_accvgpr_read_b32 v[vgprValuC+25], acc97 // copy acc to vreg[31]
s_nop 1                                            // 2 wait states required before reading vgpr

/* rC *= alpha batchElements=[(0, 3, 1, 0), (0, 4, 1, 0), (0, 5, 1, 0), (0, 6, 1, 0)] */
v_mov_b32 v26, v[vgprValuC+10]                     // store Cr
v_mul_f32 v[vgprValuC+10], s[sgprAlpha], v[vgprValuC+10] // *= alpha ( Cr = Ar * Cr)
_v_mac_f32 v[vgprValuC+10], -s[sgprAlpha+1], v[vgprValuC+11] // *= alpha ( Cr += -Ai * Ci )
v_mul_f32 v[vgprValuC+11], s[sgprAlpha], v[vgprValuC+11] // *= alpha ( Ci = Ar * Ci)
_v_mac_f32 v[vgprValuC+11], s[sgprAlpha+1], v26    // *= alpha ( Ci += Ai * Cr_backup )
v_mov_b32 v26, v[vgprValuC+14]                     // store Cr
v_mul_f32 v[vgprValuC+14], s[sgprAlpha], v[vgprValuC+14] // *= alpha ( Cr = Ar * Cr)
_v_mac_f32 v[vgprValuC+14], -s[sgprAlpha+1], v[vgprValuC+15] // *= alpha ( Cr += -Ai * Ci )
v_mul_f32 v[vgprValuC+15], s[sgprAlpha], v[vgprValuC+15] // *= alpha ( Ci = Ar * Ci)
_v_mac_f32 v[vgprValuC+15], s[sgprAlpha+1], v26    // *= alpha ( Ci += Ai * Cr_backup )
	;; [unrolled: 5-line block ×4, first 2 shown]
s_waitcnt vmcnt(0)                                 // wait C

/* apply mask, calc new C and issue writes */
_v_mac_f32 v[vgprValuC+10], v8, s[sgprBeta]        // finalSum Cr += old Cr * Br
_v_mac_f32 v[vgprValuC+10], v9, -s[sgprBeta+1]     // finalSum Cr += old Ci * -Bi
_v_mac_f32 v[vgprValuC+11], v9, s[sgprBeta]        // finalSum Ci += old Ci * Br
_v_mac_f32 v[vgprValuC+11], v8, s[sgprBeta+1]      // finalSum Ci += old Cr * Bi
_buffer_store_b64 v[10:11], v6, s[sgprSrdD:sgprSrdD+3], 0, offen, offset:0,  nt // store D
_v_mac_f32 v[vgprValuC+14], v12, s[sgprBeta]       // finalSum Cr += old Cr * Br
_v_mac_f32 v[vgprValuC+14], v13, -s[sgprBeta+1]    // finalSum Cr += old Ci * -Bi
_v_mac_f32 v[vgprValuC+15], v13, s[sgprBeta]       // finalSum Ci += old Ci * Br
_v_mac_f32 v[vgprValuC+15], v12, s[sgprBeta+1]     // finalSum Ci += old Cr * Bi
_buffer_store_b64 v[14:15], v7, s[sgprSrdD:sgprSrdD+3], 0, offen, offset:0,  nt // store D
_v_mac_f32 v[vgprValuC+20], v18, s[sgprBeta]       // finalSum Cr += old Cr * Br
_v_mac_f32 v[vgprValuC+20], v19, -s[sgprBeta+1]    // finalSum Cr += old Ci * -Bi
_v_mac_f32 v[vgprValuC+21], v19, s[sgprBeta]       // finalSum Ci += old Ci * Br
_v_mac_f32 v[vgprValuC+21], v18, s[sgprBeta+1]     // finalSum Ci += old Cr * Bi
	;; [unrolled: 5-line block ×3, first 2 shown]
_buffer_store_b64 v[24:25], v17, s[sgprSrdD:sgprSrdD+3], 0, offen, offset:0,  nt // store D
s_nop 0                                            // 1 wait state required when next inst writes vgprs held by previous dwordx4 store inst
/* optSingleColVgpr=0 optSharedColVgpr=0 optSGPRUsage=BufferLoad_Edge_Mask optSrdIncForRow=0 */
s_sleep 3 // optimization: sync and wait
s_barrier

/******************************************/
/* Global Write Alpha Beta Edge Batch #4 (d1,d0,vc1,vc0) = */
/*    (0,7,1,0:vw1); (0,8,1,0:vw1); (0,0,2,0:vw1); (0,1,2,0:vw1) */
/******************************************/

/* calc coords, apply mask, and issue loads (if necessary) */
/* (d1,vc1,d0,vc0)=(0,1,7,0) */
s_mov_b32 s56, 112                                 // coordOffset0 d0=7 vc0=0
_v_add_co_u32 v4, vcc, v0, s56                     // coord0.2: coord0 += d0*sg0*VW + vc0
v_cmp_lt_u32 s[56:57], v4, s[sgprSizeI]            // coord0 < size0
v_cmp_lt_u32 s[60:61], v1, s[sgprSizeJ]            // coord1 < size1
s_and_b64 s[60:61], s[56:57], s[60:61]             // in0 && in1
_v_add_lshl_u32 v6, v2, v4, 0x3                    // scaleToBpe: accumulate d0 lower and *= bpe into Cin addr
v_cndmask_b32 v6, -1, v6, s[60:61]                 // LDC clip if OOB. offset
_buffer_load_b64 v[8:9], v6, s[sgprSrdC:sgprSrdC+3], 0, offen offset:0,  nt // load C for beta calc
_v_add_lshl_u32 v6, v3, v4, 0x3                    // scaleToBpe: accumulate d0 lower and *= bpe into Cin addr
v_cndmask_b32 v6, -1, v6, s[60:61]                 // LDD clip if OOB. offset
/* (d1,vc1,d0,vc0)=(0,1,8,0) */
s_mov_b32 s56, 128                                 // coordOffset0 d0=8 vc0=0
_v_add_co_u32 v4, vcc, v0, s56                     // coord0.2: coord0 += d0*sg0*VW + vc0
v_cmp_lt_u32 s[56:57], v4, s[sgprSizeI]            // coord0 < size0
v_cmp_lt_u32 s[60:61], v1, s[sgprSizeJ]            // coord1 < size1
s_and_b64 s[60:61], s[56:57], s[60:61]             // in0 && in1
_v_add_lshl_u32 v7, v2, v4, 0x3                    // scaleToBpe: accumulate d0 lower and *= bpe into Cin addr
v_cndmask_b32 v7, -1, v7, s[60:61]                 // LDC clip if OOB. offset
_buffer_load_b64 v[12:13], v7, s[sgprSrdC:sgprSrdC+3], 0, offen offset:0,  nt // load C for beta calc
_v_add_lshl_u32 v7, v3, v4, 0x3                    // scaleToBpe: accumulate d0 lower and *= bpe into Cin addr
v_cndmask_b32 v7, -1, v7, s[60:61]                 // LDD clip if OOB. offset
/* (d1,vc1,d0,vc0)=(0,2,0,0) */
_v_add_co_u32 v1, vcc, v1, 1                       // coord1.1: coord1Vgpr += d1*sg1*VW + vc1

/* Fix for UseInitialStridesCD, emitAddressSetupCode */
_v_add_u32 v2, v2, s[sgprStrideC1J]                // ROWINC- Move cinRowPtr to next row
_v_add_u32 v3, v3, s[sgprStrideD1J]                // Move coutRowPtr to next row
v_cmp_lt_u32 s[56:57], v0, s[sgprSizeI]            // coord0 < size0
v_cmp_lt_u32 s[60:61], v1, s[sgprSizeJ]            // coord1 < size1
s_and_b64 s[60:61], s[56:57], s[60:61]             // in0 && in1
_v_add_lshl_u32 v16, v2, v0, 0x3                   // scaleToBpe: accumulate d0 lower and *= bpe into Cin addr
v_cndmask_b32 v16, -1, v16, s[60:61]               // LDC clip if OOB. offset
_buffer_load_b64 v[18:19], v16, s[sgprSrdC:sgprSrdC+3], 0, offen offset:0,  nt // load C for beta calc
_v_add_lshl_u32 v16, v3, v0, 0x3                   // scaleToBpe: accumulate d0 lower and *= bpe into Cin addr
v_cndmask_b32 v16, -1, v16, s[60:61]               // LDD clip if OOB. offset
/* (d1,vc1,d0,vc0)=(0,2,1,0) */
_v_add_co_u32 v4, vcc, v0, 16                      // coord0.1: coord0 += d0*sg0*VW + vc0
v_cmp_lt_u32 s[56:57], v4, s[sgprSizeI]            // coord0 < size0
v_cmp_lt_u32 s[60:61], v1, s[sgprSizeJ]            // coord1 < size1
s_and_b64 s[60:61], s[56:57], s[60:61]             // in0 && in1
_v_add_lshl_u32 v17, v2, v4, 0x3                   // scaleToBpe: accumulate d0 lower and *= bpe into Cin addr
v_cndmask_b32 v17, -1, v17, s[60:61]               // LDC clip if OOB. offset
_buffer_load_b64 v[22:23], v17, s[sgprSrdC:sgprSrdC+3], 0, offen offset:0,  nt // load C for beta calc
_v_add_lshl_u32 v17, v3, v4, 0x3                   // scaleToBpe: accumulate d0 lower and *= bpe into Cin addr
v_cndmask_b32 v17, -1, v17, s[60:61]               // LDD clip if OOB. offset
s_sleep 3 // optimization: sync and wait
s_barrier
v_accvgpr_read_b32 v[vgprValuC+10], acc29 // copy acc to vreg[32]
v_accvgpr_read_b32 v[vgprValuC+11], acc101 // copy acc to vreg[33]
v_accvgpr_read_b32 v[vgprValuC+14], acc33 // copy acc to vreg[34]
v_accvgpr_read_b32 v[vgprValuC+15], acc105 // copy acc to vreg[35]
v_accvgpr_read_b32 v[vgprValuC+20], acc2 // copy acc to vreg[36]
v_accvgpr_read_b32 v[vgprValuC+21], acc74 // copy acc to vreg[37]
v_accvgpr_read_b32 v[vgprValuC+24], acc6 // copy acc to vreg[38]
v_accvgpr_read_b32 v[vgprValuC+25], acc78 // copy acc to vreg[39]
s_nop 1                                            // 2 wait states required before reading vgpr

/* rC *= alpha batchElements=[(0, 7, 1, 0), (0, 8, 1, 0), (0, 0, 2, 0), (0, 1, 2, 0)] */
v_mov_b32 v26, v[vgprValuC+10]                     // store Cr
v_mul_f32 v[vgprValuC+10], s[sgprAlpha], v[vgprValuC+10] // *= alpha ( Cr = Ar * Cr)
_v_mac_f32 v[vgprValuC+10], -s[sgprAlpha+1], v[vgprValuC+11] // *= alpha ( Cr += -Ai * Ci )
v_mul_f32 v[vgprValuC+11], s[sgprAlpha], v[vgprValuC+11] // *= alpha ( Ci = Ar * Ci)
_v_mac_f32 v[vgprValuC+11], s[sgprAlpha+1], v26    // *= alpha ( Ci += Ai * Cr_backup )
v_mov_b32 v26, v[vgprValuC+14]                     // store Cr
v_mul_f32 v[vgprValuC+14], s[sgprAlpha], v[vgprValuC+14] // *= alpha ( Cr = Ar * Cr)
_v_mac_f32 v[vgprValuC+14], -s[sgprAlpha+1], v[vgprValuC+15] // *= alpha ( Cr += -Ai * Ci )
v_mul_f32 v[vgprValuC+15], s[sgprAlpha], v[vgprValuC+15] // *= alpha ( Ci = Ar * Ci)
_v_mac_f32 v[vgprValuC+15], s[sgprAlpha+1], v26    // *= alpha ( Ci += Ai * Cr_backup )
	;; [unrolled: 5-line block ×4, first 2 shown]
s_waitcnt vmcnt(0)                                 // wait C

/* apply mask, calc new C and issue writes */
_v_mac_f32 v[vgprValuC+10], v8, s[sgprBeta]        // finalSum Cr += old Cr * Br
_v_mac_f32 v[vgprValuC+10], v9, -s[sgprBeta+1]     // finalSum Cr += old Ci * -Bi
_v_mac_f32 v[vgprValuC+11], v9, s[sgprBeta]        // finalSum Ci += old Ci * Br
_v_mac_f32 v[vgprValuC+11], v8, s[sgprBeta+1]      // finalSum Ci += old Cr * Bi
_buffer_store_b64 v[10:11], v6, s[sgprSrdD:sgprSrdD+3], 0, offen, offset:0,  nt // store D
_v_mac_f32 v[vgprValuC+14], v12, s[sgprBeta]       // finalSum Cr += old Cr * Br
_v_mac_f32 v[vgprValuC+14], v13, -s[sgprBeta+1]    // finalSum Cr += old Ci * -Bi
_v_mac_f32 v[vgprValuC+15], v13, s[sgprBeta]       // finalSum Ci += old Ci * Br
_v_mac_f32 v[vgprValuC+15], v12, s[sgprBeta+1]     // finalSum Ci += old Cr * Bi
_buffer_store_b64 v[14:15], v7, s[sgprSrdD:sgprSrdD+3], 0, offen, offset:0,  nt // store D
_v_mac_f32 v[vgprValuC+20], v18, s[sgprBeta]       // finalSum Cr += old Cr * Br
_v_mac_f32 v[vgprValuC+20], v19, -s[sgprBeta+1]    // finalSum Cr += old Ci * -Bi
_v_mac_f32 v[vgprValuC+21], v19, s[sgprBeta]       // finalSum Ci += old Ci * Br
_v_mac_f32 v[vgprValuC+21], v18, s[sgprBeta+1]     // finalSum Ci += old Cr * Bi
	;; [unrolled: 5-line block ×3, first 2 shown]
_buffer_store_b64 v[24:25], v17, s[sgprSrdD:sgprSrdD+3], 0, offen, offset:0,  nt // store D
s_nop 0                                            // 1 wait state required when next inst writes vgprs held by previous dwordx4 store inst
/* optSingleColVgpr=0 optSharedColVgpr=0 optSGPRUsage=BufferLoad_Edge_Mask optSrdIncForRow=0 */
s_sleep 3 // optimization: sync and wait
s_barrier

/******************************************/
/* Global Write Alpha Beta Edge Batch #5 (d1,d0,vc1,vc0) = */
/*    (0,2,2,0:vw1); (0,3,2,0:vw1); (0,4,2,0:vw1); (0,5,2,0:vw1) */
/******************************************/

/* calc coords, apply mask, and issue loads (if necessary) */
/* (d1,vc1,d0,vc0)=(0,2,2,0) */
_v_add_co_u32 v4, vcc, v0, 32                      // coord0.1: coord0 += d0*sg0*VW + vc0
v_cmp_lt_u32 s[56:57], v4, s[sgprSizeI]            // coord0 < size0
v_cmp_lt_u32 s[60:61], v1, s[sgprSizeJ]            // coord1 < size1
s_and_b64 s[60:61], s[56:57], s[60:61]             // in0 && in1
_v_add_lshl_u32 v6, v2, v4, 0x3                    // scaleToBpe: accumulate d0 lower and *= bpe into Cin addr
v_cndmask_b32 v6, -1, v6, s[60:61]                 // LDC clip if OOB. offset
_buffer_load_b64 v[8:9], v6, s[sgprSrdC:sgprSrdC+3], 0, offen offset:0,  nt // load C for beta calc
_v_add_lshl_u32 v6, v3, v4, 0x3                    // scaleToBpe: accumulate d0 lower and *= bpe into Cin addr
v_cndmask_b32 v6, -1, v6, s[60:61]                 // LDD clip if OOB. offset
/* (d1,vc1,d0,vc0)=(0,2,3,0) */
_v_add_co_u32 v4, vcc, v0, 48                      // coord0.1: coord0 += d0*sg0*VW + vc0
v_cmp_lt_u32 s[56:57], v4, s[sgprSizeI]            // coord0 < size0
v_cmp_lt_u32 s[60:61], v1, s[sgprSizeJ]            // coord1 < size1
s_and_b64 s[60:61], s[56:57], s[60:61]             // in0 && in1
_v_add_lshl_u32 v7, v2, v4, 0x3                    // scaleToBpe: accumulate d0 lower and *= bpe into Cin addr
v_cndmask_b32 v7, -1, v7, s[60:61]                 // LDC clip if OOB. offset
_buffer_load_b64 v[12:13], v7, s[sgprSrdC:sgprSrdC+3], 0, offen offset:0,  nt // load C for beta calc
_v_add_lshl_u32 v7, v3, v4, 0x3                    // scaleToBpe: accumulate d0 lower and *= bpe into Cin addr
v_cndmask_b32 v7, -1, v7, s[60:61]                 // LDD clip if OOB. offset
/* (d1,vc1,d0,vc0)=(0,2,4,0) */
_v_add_co_u32 v4, vcc, v0, 64                      // coord0.1: coord0 += d0*sg0*VW + vc0
v_cmp_lt_u32 s[56:57], v4, s[sgprSizeI]            // coord0 < size0
v_cmp_lt_u32 s[60:61], v1, s[sgprSizeJ]            // coord1 < size1
s_and_b64 s[60:61], s[56:57], s[60:61]             // in0 && in1
_v_add_lshl_u32 v16, v2, v4, 0x3                   // scaleToBpe: accumulate d0 lower and *= bpe into Cin addr
v_cndmask_b32 v16, -1, v16, s[60:61]               // LDC clip if OOB. offset
_buffer_load_b64 v[18:19], v16, s[sgprSrdC:sgprSrdC+3], 0, offen offset:0,  nt // load C for beta calc
_v_add_lshl_u32 v16, v3, v4, 0x3                   // scaleToBpe: accumulate d0 lower and *= bpe into Cin addr
v_cndmask_b32 v16, -1, v16, s[60:61]               // LDD clip if OOB. offset
/* (d1,vc1,d0,vc0)=(0,2,5,0) */
s_mov_b32 s56, 80                                  // coordOffset0 d0=5 vc0=0
_v_add_co_u32 v4, vcc, v0, s56                     // coord0.2: coord0 += d0*sg0*VW + vc0
v_cmp_lt_u32 s[56:57], v4, s[sgprSizeI]            // coord0 < size0
v_cmp_lt_u32 s[60:61], v1, s[sgprSizeJ]            // coord1 < size1
s_and_b64 s[60:61], s[56:57], s[60:61]             // in0 && in1
_v_add_lshl_u32 v17, v2, v4, 0x3                   // scaleToBpe: accumulate d0 lower and *= bpe into Cin addr
v_cndmask_b32 v17, -1, v17, s[60:61]               // LDC clip if OOB. offset
_buffer_load_b64 v[22:23], v17, s[sgprSrdC:sgprSrdC+3], 0, offen offset:0,  nt // load C for beta calc
_v_add_lshl_u32 v17, v3, v4, 0x3                   // scaleToBpe: accumulate d0 lower and *= bpe into Cin addr
v_cndmask_b32 v17, -1, v17, s[60:61]               // LDD clip if OOB. offset
s_sleep 3 // optimization: sync and wait
s_barrier
v_accvgpr_read_b32 v[vgprValuC+10], acc10 // copy acc to vreg[40]
v_accvgpr_read_b32 v[vgprValuC+11], acc82 // copy acc to vreg[41]
v_accvgpr_read_b32 v[vgprValuC+14], acc14 // copy acc to vreg[42]
v_accvgpr_read_b32 v[vgprValuC+15], acc86 // copy acc to vreg[43]
v_accvgpr_read_b32 v[vgprValuC+20], acc18 // copy acc to vreg[44]
v_accvgpr_read_b32 v[vgprValuC+21], acc90 // copy acc to vreg[45]
v_accvgpr_read_b32 v[vgprValuC+24], acc22 // copy acc to vreg[46]
v_accvgpr_read_b32 v[vgprValuC+25], acc94 // copy acc to vreg[47]
s_nop 1                                            // 2 wait states required before reading vgpr

/* rC *= alpha batchElements=[(0, 2, 2, 0), (0, 3, 2, 0), (0, 4, 2, 0), (0, 5, 2, 0)] */
v_mov_b32 v26, v[vgprValuC+10]                     // store Cr
v_mul_f32 v[vgprValuC+10], s[sgprAlpha], v[vgprValuC+10] // *= alpha ( Cr = Ar * Cr)
_v_mac_f32 v[vgprValuC+10], -s[sgprAlpha+1], v[vgprValuC+11] // *= alpha ( Cr += -Ai * Ci )
v_mul_f32 v[vgprValuC+11], s[sgprAlpha], v[vgprValuC+11] // *= alpha ( Ci = Ar * Ci)
_v_mac_f32 v[vgprValuC+11], s[sgprAlpha+1], v26    // *= alpha ( Ci += Ai * Cr_backup )
v_mov_b32 v26, v[vgprValuC+14]                     // store Cr
v_mul_f32 v[vgprValuC+14], s[sgprAlpha], v[vgprValuC+14] // *= alpha ( Cr = Ar * Cr)
_v_mac_f32 v[vgprValuC+14], -s[sgprAlpha+1], v[vgprValuC+15] // *= alpha ( Cr += -Ai * Ci )
v_mul_f32 v[vgprValuC+15], s[sgprAlpha], v[vgprValuC+15] // *= alpha ( Ci = Ar * Ci)
_v_mac_f32 v[vgprValuC+15], s[sgprAlpha+1], v26    // *= alpha ( Ci += Ai * Cr_backup )
v_mov_b32 v26, v[vgprValuC+20]                     // store Cr
v_mul_f32 v[vgprValuC+20], s[sgprAlpha], v[vgprValuC+20] // *= alpha ( Cr = Ar * Cr)
_v_mac_f32 v[vgprValuC+20], -s[sgprAlpha+1], v[vgprValuC+21] // *= alpha ( Cr += -Ai * Ci )
v_mul_f32 v[vgprValuC+21], s[sgprAlpha], v[vgprValuC+21] // *= alpha ( Ci = Ar * Ci)
_v_mac_f32 v[vgprValuC+21], s[sgprAlpha+1], v26    // *= alpha ( Ci += Ai * Cr_backup )
v_mov_b32 v26, v[vgprValuC+24]                     // store Cr
v_mul_f32 v[vgprValuC+24], s[sgprAlpha], v[vgprValuC+24] // *= alpha ( Cr = Ar * Cr)
_v_mac_f32 v[vgprValuC+24], -s[sgprAlpha+1], v[vgprValuC+25] // *= alpha ( Cr += -Ai * Ci )
v_mul_f32 v[vgprValuC+25], s[sgprAlpha], v[vgprValuC+25] // *= alpha ( Ci = Ar * Ci)
_v_mac_f32 v[vgprValuC+25], s[sgprAlpha+1], v26    // *= alpha ( Ci += Ai * Cr_backup )
s_waitcnt vmcnt(0)                                 // wait C

/* apply mask, calc new C and issue writes */
_v_mac_f32 v[vgprValuC+10], v8, s[sgprBeta]        // finalSum Cr += old Cr * Br
_v_mac_f32 v[vgprValuC+10], v9, -s[sgprBeta+1]     // finalSum Cr += old Ci * -Bi
_v_mac_f32 v[vgprValuC+11], v9, s[sgprBeta]        // finalSum Ci += old Ci * Br
_v_mac_f32 v[vgprValuC+11], v8, s[sgprBeta+1]      // finalSum Ci += old Cr * Bi
_buffer_store_b64 v[10:11], v6, s[sgprSrdD:sgprSrdD+3], 0, offen, offset:0,  nt // store D
_v_mac_f32 v[vgprValuC+14], v12, s[sgprBeta]       // finalSum Cr += old Cr * Br
_v_mac_f32 v[vgprValuC+14], v13, -s[sgprBeta+1]    // finalSum Cr += old Ci * -Bi
_v_mac_f32 v[vgprValuC+15], v13, s[sgprBeta]       // finalSum Ci += old Ci * Br
_v_mac_f32 v[vgprValuC+15], v12, s[sgprBeta+1]     // finalSum Ci += old Cr * Bi
_buffer_store_b64 v[14:15], v7, s[sgprSrdD:sgprSrdD+3], 0, offen, offset:0,  nt // store D
_v_mac_f32 v[vgprValuC+20], v18, s[sgprBeta]       // finalSum Cr += old Cr * Br
_v_mac_f32 v[vgprValuC+20], v19, -s[sgprBeta+1]    // finalSum Cr += old Ci * -Bi
_v_mac_f32 v[vgprValuC+21], v19, s[sgprBeta]       // finalSum Ci += old Ci * Br
_v_mac_f32 v[vgprValuC+21], v18, s[sgprBeta+1]     // finalSum Ci += old Cr * Bi
	;; [unrolled: 5-line block ×3, first 2 shown]
_buffer_store_b64 v[24:25], v17, s[sgprSrdD:sgprSrdD+3], 0, offen, offset:0,  nt // store D
s_nop 0                                            // 1 wait state required when next inst writes vgprs held by previous dwordx4 store inst
/* optSingleColVgpr=0 optSharedColVgpr=0 optSGPRUsage=BufferLoad_Edge_Mask optSrdIncForRow=0 */
s_sleep 3 // optimization: sync and wait
s_barrier

/******************************************/
/* Global Write Alpha Beta Edge Batch #6 (d1,d0,vc1,vc0) = */
/*    (0,6,2,0:vw1); (0,7,2,0:vw1); (0,8,2,0:vw1); (0,0,3,0:vw1) */
/******************************************/

/* calc coords, apply mask, and issue loads (if necessary) */
/* (d1,vc1,d0,vc0)=(0,2,6,0) */
s_mov_b32 s56, 96                                  // coordOffset0 d0=6 vc0=0
_v_add_co_u32 v4, vcc, v0, s56                     // coord0.2: coord0 += d0*sg0*VW + vc0
v_cmp_lt_u32 s[56:57], v4, s[sgprSizeI]            // coord0 < size0
v_cmp_lt_u32 s[60:61], v1, s[sgprSizeJ]            // coord1 < size1
s_and_b64 s[60:61], s[56:57], s[60:61]             // in0 && in1
_v_add_lshl_u32 v6, v2, v4, 0x3                    // scaleToBpe: accumulate d0 lower and *= bpe into Cin addr
v_cndmask_b32 v6, -1, v6, s[60:61]                 // LDC clip if OOB. offset
_buffer_load_b64 v[8:9], v6, s[sgprSrdC:sgprSrdC+3], 0, offen offset:0,  nt // load C for beta calc
_v_add_lshl_u32 v6, v3, v4, 0x3                    // scaleToBpe: accumulate d0 lower and *= bpe into Cin addr
v_cndmask_b32 v6, -1, v6, s[60:61]                 // LDD clip if OOB. offset
/* (d1,vc1,d0,vc0)=(0,2,7,0) */
s_mov_b32 s56, 112                                 // coordOffset0 d0=7 vc0=0
_v_add_co_u32 v4, vcc, v0, s56                     // coord0.2: coord0 += d0*sg0*VW + vc0
v_cmp_lt_u32 s[56:57], v4, s[sgprSizeI]            // coord0 < size0
v_cmp_lt_u32 s[60:61], v1, s[sgprSizeJ]            // coord1 < size1
s_and_b64 s[60:61], s[56:57], s[60:61]             // in0 && in1
_v_add_lshl_u32 v7, v2, v4, 0x3                    // scaleToBpe: accumulate d0 lower and *= bpe into Cin addr
v_cndmask_b32 v7, -1, v7, s[60:61]                 // LDC clip if OOB. offset
_buffer_load_b64 v[12:13], v7, s[sgprSrdC:sgprSrdC+3], 0, offen offset:0,  nt // load C for beta calc
_v_add_lshl_u32 v7, v3, v4, 0x3                    // scaleToBpe: accumulate d0 lower and *= bpe into Cin addr
v_cndmask_b32 v7, -1, v7, s[60:61]                 // LDD clip if OOB. offset
/* (d1,vc1,d0,vc0)=(0,2,8,0) */
s_mov_b32 s56, 128                                 // coordOffset0 d0=8 vc0=0
_v_add_co_u32 v4, vcc, v0, s56                     // coord0.2: coord0 += d0*sg0*VW + vc0
v_cmp_lt_u32 s[56:57], v4, s[sgprSizeI]            // coord0 < size0
v_cmp_lt_u32 s[60:61], v1, s[sgprSizeJ]            // coord1 < size1
s_and_b64 s[60:61], s[56:57], s[60:61]             // in0 && in1
_v_add_lshl_u32 v16, v2, v4, 0x3                   // scaleToBpe: accumulate d0 lower and *= bpe into Cin addr
v_cndmask_b32 v16, -1, v16, s[60:61]               // LDC clip if OOB. offset
_buffer_load_b64 v[18:19], v16, s[sgprSrdC:sgprSrdC+3], 0, offen offset:0,  nt // load C for beta calc
_v_add_lshl_u32 v16, v3, v4, 0x3                   // scaleToBpe: accumulate d0 lower and *= bpe into Cin addr
v_cndmask_b32 v16, -1, v16, s[60:61]               // LDD clip if OOB. offset
/* (d1,vc1,d0,vc0)=(0,3,0,0) */
_v_add_co_u32 v1, vcc, v1, 1                       // coord1.1: coord1Vgpr += d1*sg1*VW + vc1

/* Fix for UseInitialStridesCD, emitAddressSetupCode */
_v_add_u32 v2, v2, s[sgprStrideC1J]                // ROWINC- Move cinRowPtr to next row
_v_add_u32 v3, v3, s[sgprStrideD1J]                // Move coutRowPtr to next row
v_cmp_lt_u32 s[56:57], v0, s[sgprSizeI]            // coord0 < size0
v_cmp_lt_u32 s[60:61], v1, s[sgprSizeJ]            // coord1 < size1
s_and_b64 s[60:61], s[56:57], s[60:61]             // in0 && in1
_v_add_lshl_u32 v17, v2, v0, 0x3                   // scaleToBpe: accumulate d0 lower and *= bpe into Cin addr
v_cndmask_b32 v17, -1, v17, s[60:61]               // LDC clip if OOB. offset
_buffer_load_b64 v[22:23], v17, s[sgprSrdC:sgprSrdC+3], 0, offen offset:0,  nt // load C for beta calc
_v_add_lshl_u32 v17, v3, v0, 0x3                   // scaleToBpe: accumulate d0 lower and *= bpe into Cin addr
v_cndmask_b32 v17, -1, v17, s[60:61]               // LDD clip if OOB. offset
s_sleep 3 // optimization: sync and wait
s_barrier
v_accvgpr_read_b32 v[vgprValuC+10], acc26 // copy acc to vreg[48]
v_accvgpr_read_b32 v[vgprValuC+11], acc98 // copy acc to vreg[49]
v_accvgpr_read_b32 v[vgprValuC+14], acc30 // copy acc to vreg[50]
v_accvgpr_read_b32 v[vgprValuC+15], acc102 // copy acc to vreg[51]
v_accvgpr_read_b32 v[vgprValuC+20], acc34 // copy acc to vreg[52]
v_accvgpr_read_b32 v[vgprValuC+21], acc106 // copy acc to vreg[53]
v_accvgpr_read_b32 v[vgprValuC+24], acc3 // copy acc to vreg[54]
v_accvgpr_read_b32 v[vgprValuC+25], acc75 // copy acc to vreg[55]
s_nop 1                                            // 2 wait states required before reading vgpr

/* rC *= alpha batchElements=[(0, 6, 2, 0), (0, 7, 2, 0), (0, 8, 2, 0), (0, 0, 3, 0)] */
v_mov_b32 v26, v[vgprValuC+10]                     // store Cr
v_mul_f32 v[vgprValuC+10], s[sgprAlpha], v[vgprValuC+10] // *= alpha ( Cr = Ar * Cr)
_v_mac_f32 v[vgprValuC+10], -s[sgprAlpha+1], v[vgprValuC+11] // *= alpha ( Cr += -Ai * Ci )
v_mul_f32 v[vgprValuC+11], s[sgprAlpha], v[vgprValuC+11] // *= alpha ( Ci = Ar * Ci)
_v_mac_f32 v[vgprValuC+11], s[sgprAlpha+1], v26    // *= alpha ( Ci += Ai * Cr_backup )
v_mov_b32 v26, v[vgprValuC+14]                     // store Cr
v_mul_f32 v[vgprValuC+14], s[sgprAlpha], v[vgprValuC+14] // *= alpha ( Cr = Ar * Cr)
_v_mac_f32 v[vgprValuC+14], -s[sgprAlpha+1], v[vgprValuC+15] // *= alpha ( Cr += -Ai * Ci )
v_mul_f32 v[vgprValuC+15], s[sgprAlpha], v[vgprValuC+15] // *= alpha ( Ci = Ar * Ci)
_v_mac_f32 v[vgprValuC+15], s[sgprAlpha+1], v26    // *= alpha ( Ci += Ai * Cr_backup )
	;; [unrolled: 5-line block ×4, first 2 shown]
s_waitcnt vmcnt(0)                                 // wait C

/* apply mask, calc new C and issue writes */
_v_mac_f32 v[vgprValuC+10], v8, s[sgprBeta]        // finalSum Cr += old Cr * Br
_v_mac_f32 v[vgprValuC+10], v9, -s[sgprBeta+1]     // finalSum Cr += old Ci * -Bi
_v_mac_f32 v[vgprValuC+11], v9, s[sgprBeta]        // finalSum Ci += old Ci * Br
_v_mac_f32 v[vgprValuC+11], v8, s[sgprBeta+1]      // finalSum Ci += old Cr * Bi
_buffer_store_b64 v[10:11], v6, s[sgprSrdD:sgprSrdD+3], 0, offen, offset:0,  nt // store D
_v_mac_f32 v[vgprValuC+14], v12, s[sgprBeta]       // finalSum Cr += old Cr * Br
_v_mac_f32 v[vgprValuC+14], v13, -s[sgprBeta+1]    // finalSum Cr += old Ci * -Bi
_v_mac_f32 v[vgprValuC+15], v13, s[sgprBeta]       // finalSum Ci += old Ci * Br
_v_mac_f32 v[vgprValuC+15], v12, s[sgprBeta+1]     // finalSum Ci += old Cr * Bi
_buffer_store_b64 v[14:15], v7, s[sgprSrdD:sgprSrdD+3], 0, offen, offset:0,  nt // store D
_v_mac_f32 v[vgprValuC+20], v18, s[sgprBeta]       // finalSum Cr += old Cr * Br
_v_mac_f32 v[vgprValuC+20], v19, -s[sgprBeta+1]    // finalSum Cr += old Ci * -Bi
_v_mac_f32 v[vgprValuC+21], v19, s[sgprBeta]       // finalSum Ci += old Ci * Br
_v_mac_f32 v[vgprValuC+21], v18, s[sgprBeta+1]     // finalSum Ci += old Cr * Bi
	;; [unrolled: 5-line block ×3, first 2 shown]
_buffer_store_b64 v[24:25], v17, s[sgprSrdD:sgprSrdD+3], 0, offen, offset:0,  nt // store D
s_nop 0                                            // 1 wait state required when next inst writes vgprs held by previous dwordx4 store inst
/* optSingleColVgpr=0 optSharedColVgpr=0 optSGPRUsage=BufferLoad_Edge_Mask optSrdIncForRow=0 */
s_sleep 3 // optimization: sync and wait
s_barrier

/******************************************/
/* Global Write Alpha Beta Edge Batch #7 (d1,d0,vc1,vc0) = */
/*    (0,1,3,0:vw1); (0,2,3,0:vw1); (0,3,3,0:vw1); (0,4,3,0:vw1) */
/******************************************/

/* calc coords, apply mask, and issue loads (if necessary) */
/* (d1,vc1,d0,vc0)=(0,3,1,0) */
_v_add_co_u32 v4, vcc, v0, 16                      // coord0.1: coord0 += d0*sg0*VW + vc0
v_cmp_lt_u32 s[56:57], v4, s[sgprSizeI]            // coord0 < size0
v_cmp_lt_u32 s[60:61], v1, s[sgprSizeJ]            // coord1 < size1
s_and_b64 s[60:61], s[56:57], s[60:61]             // in0 && in1
_v_add_lshl_u32 v6, v2, v4, 0x3                    // scaleToBpe: accumulate d0 lower and *= bpe into Cin addr
v_cndmask_b32 v6, -1, v6, s[60:61]                 // LDC clip if OOB. offset
_buffer_load_b64 v[8:9], v6, s[sgprSrdC:sgprSrdC+3], 0, offen offset:0,  nt // load C for beta calc
_v_add_lshl_u32 v6, v3, v4, 0x3                    // scaleToBpe: accumulate d0 lower and *= bpe into Cin addr
v_cndmask_b32 v6, -1, v6, s[60:61]                 // LDD clip if OOB. offset
/* (d1,vc1,d0,vc0)=(0,3,2,0) */
_v_add_co_u32 v4, vcc, v0, 32                      // coord0.1: coord0 += d0*sg0*VW + vc0
v_cmp_lt_u32 s[56:57], v4, s[sgprSizeI]            // coord0 < size0
v_cmp_lt_u32 s[60:61], v1, s[sgprSizeJ]            // coord1 < size1
s_and_b64 s[60:61], s[56:57], s[60:61]             // in0 && in1
_v_add_lshl_u32 v7, v2, v4, 0x3                    // scaleToBpe: accumulate d0 lower and *= bpe into Cin addr
v_cndmask_b32 v7, -1, v7, s[60:61]                 // LDC clip if OOB. offset
_buffer_load_b64 v[12:13], v7, s[sgprSrdC:sgprSrdC+3], 0, offen offset:0,  nt // load C for beta calc
_v_add_lshl_u32 v7, v3, v4, 0x3                    // scaleToBpe: accumulate d0 lower and *= bpe into Cin addr
v_cndmask_b32 v7, -1, v7, s[60:61]                 // LDD clip if OOB. offset
/* (d1,vc1,d0,vc0)=(0,3,3,0) */
_v_add_co_u32 v4, vcc, v0, 48                      // coord0.1: coord0 += d0*sg0*VW + vc0
v_cmp_lt_u32 s[56:57], v4, s[sgprSizeI]            // coord0 < size0
v_cmp_lt_u32 s[60:61], v1, s[sgprSizeJ]            // coord1 < size1
s_and_b64 s[60:61], s[56:57], s[60:61]             // in0 && in1
_v_add_lshl_u32 v16, v2, v4, 0x3                   // scaleToBpe: accumulate d0 lower and *= bpe into Cin addr
v_cndmask_b32 v16, -1, v16, s[60:61]               // LDC clip if OOB. offset
_buffer_load_b64 v[18:19], v16, s[sgprSrdC:sgprSrdC+3], 0, offen offset:0,  nt // load C for beta calc
_v_add_lshl_u32 v16, v3, v4, 0x3                   // scaleToBpe: accumulate d0 lower and *= bpe into Cin addr
v_cndmask_b32 v16, -1, v16, s[60:61]               // LDD clip if OOB. offset
/* (d1,vc1,d0,vc0)=(0,3,4,0) */
_v_add_co_u32 v4, vcc, v0, 64                      // coord0.1: coord0 += d0*sg0*VW + vc0
v_cmp_lt_u32 s[56:57], v4, s[sgprSizeI]            // coord0 < size0
v_cmp_lt_u32 s[60:61], v1, s[sgprSizeJ]            // coord1 < size1
s_and_b64 s[60:61], s[56:57], s[60:61]             // in0 && in1
_v_add_lshl_u32 v17, v2, v4, 0x3                   // scaleToBpe: accumulate d0 lower and *= bpe into Cin addr
v_cndmask_b32 v17, -1, v17, s[60:61]               // LDC clip if OOB. offset
_buffer_load_b64 v[22:23], v17, s[sgprSrdC:sgprSrdC+3], 0, offen offset:0,  nt // load C for beta calc
_v_add_lshl_u32 v17, v3, v4, 0x3                   // scaleToBpe: accumulate d0 lower and *= bpe into Cin addr
v_cndmask_b32 v17, -1, v17, s[60:61]               // LDD clip if OOB. offset
s_sleep 3 // optimization: sync and wait
s_barrier
v_accvgpr_read_b32 v[vgprValuC+10], acc7 // copy acc to vreg[56]
v_accvgpr_read_b32 v[vgprValuC+11], acc79 // copy acc to vreg[57]
v_accvgpr_read_b32 v[vgprValuC+14], acc11 // copy acc to vreg[58]
v_accvgpr_read_b32 v[vgprValuC+15], acc83 // copy acc to vreg[59]
v_accvgpr_read_b32 v[vgprValuC+20], acc15 // copy acc to vreg[60]
v_accvgpr_read_b32 v[vgprValuC+21], acc87 // copy acc to vreg[61]
v_accvgpr_read_b32 v[vgprValuC+24], acc19 // copy acc to vreg[62]
v_accvgpr_read_b32 v[vgprValuC+25], acc91 // copy acc to vreg[63]
s_nop 1                                            // 2 wait states required before reading vgpr

/* rC *= alpha batchElements=[(0, 1, 3, 0), (0, 2, 3, 0), (0, 3, 3, 0), (0, 4, 3, 0)] */
v_mov_b32 v26, v[vgprValuC+10]                     // store Cr
v_mul_f32 v[vgprValuC+10], s[sgprAlpha], v[vgprValuC+10] // *= alpha ( Cr = Ar * Cr)
_v_mac_f32 v[vgprValuC+10], -s[sgprAlpha+1], v[vgprValuC+11] // *= alpha ( Cr += -Ai * Ci )
v_mul_f32 v[vgprValuC+11], s[sgprAlpha], v[vgprValuC+11] // *= alpha ( Ci = Ar * Ci)
_v_mac_f32 v[vgprValuC+11], s[sgprAlpha+1], v26    // *= alpha ( Ci += Ai * Cr_backup )
v_mov_b32 v26, v[vgprValuC+14]                     // store Cr
v_mul_f32 v[vgprValuC+14], s[sgprAlpha], v[vgprValuC+14] // *= alpha ( Cr = Ar * Cr)
_v_mac_f32 v[vgprValuC+14], -s[sgprAlpha+1], v[vgprValuC+15] // *= alpha ( Cr += -Ai * Ci )
v_mul_f32 v[vgprValuC+15], s[sgprAlpha], v[vgprValuC+15] // *= alpha ( Ci = Ar * Ci)
_v_mac_f32 v[vgprValuC+15], s[sgprAlpha+1], v26    // *= alpha ( Ci += Ai * Cr_backup )
	;; [unrolled: 5-line block ×4, first 2 shown]
s_waitcnt vmcnt(0)                                 // wait C

/* apply mask, calc new C and issue writes */
_v_mac_f32 v[vgprValuC+10], v8, s[sgprBeta]        // finalSum Cr += old Cr * Br
_v_mac_f32 v[vgprValuC+10], v9, -s[sgprBeta+1]     // finalSum Cr += old Ci * -Bi
_v_mac_f32 v[vgprValuC+11], v9, s[sgprBeta]        // finalSum Ci += old Ci * Br
_v_mac_f32 v[vgprValuC+11], v8, s[sgprBeta+1]      // finalSum Ci += old Cr * Bi
_buffer_store_b64 v[10:11], v6, s[sgprSrdD:sgprSrdD+3], 0, offen, offset:0,  nt // store D
_v_mac_f32 v[vgprValuC+14], v12, s[sgprBeta]       // finalSum Cr += old Cr * Br
_v_mac_f32 v[vgprValuC+14], v13, -s[sgprBeta+1]    // finalSum Cr += old Ci * -Bi
_v_mac_f32 v[vgprValuC+15], v13, s[sgprBeta]       // finalSum Ci += old Ci * Br
_v_mac_f32 v[vgprValuC+15], v12, s[sgprBeta+1]     // finalSum Ci += old Cr * Bi
_buffer_store_b64 v[14:15], v7, s[sgprSrdD:sgprSrdD+3], 0, offen, offset:0,  nt // store D
_v_mac_f32 v[vgprValuC+20], v18, s[sgprBeta]       // finalSum Cr += old Cr * Br
_v_mac_f32 v[vgprValuC+20], v19, -s[sgprBeta+1]    // finalSum Cr += old Ci * -Bi
_v_mac_f32 v[vgprValuC+21], v19, s[sgprBeta]       // finalSum Ci += old Ci * Br
_v_mac_f32 v[vgprValuC+21], v18, s[sgprBeta+1]     // finalSum Ci += old Cr * Bi
	;; [unrolled: 5-line block ×3, first 2 shown]
_buffer_store_b64 v[24:25], v17, s[sgprSrdD:sgprSrdD+3], 0, offen, offset:0,  nt // store D
s_nop 0                                            // 1 wait state required when next inst writes vgprs held by previous dwordx4 store inst
/* optSingleColVgpr=0 optSharedColVgpr=0 optSGPRUsage=BufferLoad_Edge_Mask optSrdIncForRow=0 */
s_sleep 3 // optimization: sync and wait
s_barrier

/******************************************/
/* Global Write Alpha Beta Edge Batch #8 (d1,d0,vc1,vc0) = */
/*    (0,5,3,0:vw1); (0,6,3,0:vw1); (0,7,3,0:vw1); (0,8,3,0:vw1) */
/******************************************/

/* calc coords, apply mask, and issue loads (if necessary) */
/* (d1,vc1,d0,vc0)=(0,3,5,0) */
s_mov_b32 s56, 80                                  // coordOffset0 d0=5 vc0=0
_v_add_co_u32 v4, vcc, v0, s56                     // coord0.2: coord0 += d0*sg0*VW + vc0
v_cmp_lt_u32 s[56:57], v4, s[sgprSizeI]            // coord0 < size0
v_cmp_lt_u32 s[60:61], v1, s[sgprSizeJ]            // coord1 < size1
s_and_b64 s[60:61], s[56:57], s[60:61]             // in0 && in1
_v_add_lshl_u32 v6, v2, v4, 0x3                    // scaleToBpe: accumulate d0 lower and *= bpe into Cin addr
v_cndmask_b32 v6, -1, v6, s[60:61]                 // LDC clip if OOB. offset
_buffer_load_b64 v[8:9], v6, s[sgprSrdC:sgprSrdC+3], 0, offen offset:0,  nt // load C for beta calc
_v_add_lshl_u32 v6, v3, v4, 0x3                    // scaleToBpe: accumulate d0 lower and *= bpe into Cin addr
v_cndmask_b32 v6, -1, v6, s[60:61]                 // LDD clip if OOB. offset
/* (d1,vc1,d0,vc0)=(0,3,6,0) */
s_mov_b32 s56, 96                                  // coordOffset0 d0=6 vc0=0
_v_add_co_u32 v4, vcc, v0, s56                     // coord0.2: coord0 += d0*sg0*VW + vc0
v_cmp_lt_u32 s[56:57], v4, s[sgprSizeI]            // coord0 < size0
v_cmp_lt_u32 s[60:61], v1, s[sgprSizeJ]            // coord1 < size1
s_and_b64 s[60:61], s[56:57], s[60:61]             // in0 && in1
_v_add_lshl_u32 v7, v2, v4, 0x3                    // scaleToBpe: accumulate d0 lower and *= bpe into Cin addr
v_cndmask_b32 v7, -1, v7, s[60:61]                 // LDC clip if OOB. offset
_buffer_load_b64 v[12:13], v7, s[sgprSrdC:sgprSrdC+3], 0, offen offset:0,  nt // load C for beta calc
_v_add_lshl_u32 v7, v3, v4, 0x3                    // scaleToBpe: accumulate d0 lower and *= bpe into Cin addr
v_cndmask_b32 v7, -1, v7, s[60:61]                 // LDD clip if OOB. offset
/* (d1,vc1,d0,vc0)=(0,3,7,0) */
s_mov_b32 s56, 112                                 // coordOffset0 d0=7 vc0=0
_v_add_co_u32 v4, vcc, v0, s56                     // coord0.2: coord0 += d0*sg0*VW + vc0
v_cmp_lt_u32 s[56:57], v4, s[sgprSizeI]            // coord0 < size0
v_cmp_lt_u32 s[60:61], v1, s[sgprSizeJ]            // coord1 < size1
s_and_b64 s[60:61], s[56:57], s[60:61]             // in0 && in1
_v_add_lshl_u32 v16, v2, v4, 0x3                   // scaleToBpe: accumulate d0 lower and *= bpe into Cin addr
v_cndmask_b32 v16, -1, v16, s[60:61]               // LDC clip if OOB. offset
_buffer_load_b64 v[18:19], v16, s[sgprSrdC:sgprSrdC+3], 0, offen offset:0,  nt // load C for beta calc
_v_add_lshl_u32 v16, v3, v4, 0x3                   // scaleToBpe: accumulate d0 lower and *= bpe into Cin addr
v_cndmask_b32 v16, -1, v16, s[60:61]               // LDD clip if OOB. offset
/* (d1,vc1,d0,vc0)=(0,3,8,0) */
s_mov_b32 s56, 128                                 // coordOffset0 d0=8 vc0=0
_v_add_co_u32 v4, vcc, v0, s56                     // coord0.2: coord0 += d0*sg0*VW + vc0
v_cmp_lt_u32 s[56:57], v4, s[sgprSizeI]            // coord0 < size0
v_cmp_lt_u32 s[60:61], v1, s[sgprSizeJ]            // coord1 < size1
s_and_b64 s[60:61], s[56:57], s[60:61]             // in0 && in1
_v_add_lshl_u32 v17, v2, v4, 0x3                   // scaleToBpe: accumulate d0 lower and *= bpe into Cin addr
v_cndmask_b32 v17, -1, v17, s[60:61]               // LDC clip if OOB. offset
_buffer_load_b64 v[22:23], v17, s[sgprSrdC:sgprSrdC+3], 0, offen offset:0,  nt // load C for beta calc
_v_add_lshl_u32 v17, v3, v4, 0x3                   // scaleToBpe: accumulate d0 lower and *= bpe into Cin addr
v_cndmask_b32 v17, -1, v17, s[60:61]               // LDD clip if OOB. offset
s_sleep 3 // optimization: sync and wait
s_barrier
v_accvgpr_read_b32 v[vgprValuC+10], acc23 // copy acc to vreg[64]
v_accvgpr_read_b32 v[vgprValuC+11], acc95 // copy acc to vreg[65]
v_accvgpr_read_b32 v[vgprValuC+14], acc27 // copy acc to vreg[66]
v_accvgpr_read_b32 v[vgprValuC+15], acc99 // copy acc to vreg[67]
v_accvgpr_read_b32 v[vgprValuC+20], acc31 // copy acc to vreg[68]
v_accvgpr_read_b32 v[vgprValuC+21], acc103 // copy acc to vreg[69]
v_accvgpr_read_b32 v[vgprValuC+24], acc35 // copy acc to vreg[70]
v_accvgpr_read_b32 v[vgprValuC+25], acc107 // copy acc to vreg[71]
s_nop 1                                            // 2 wait states required before reading vgpr

/* rC *= alpha batchElements=[(0, 5, 3, 0), (0, 6, 3, 0), (0, 7, 3, 0), (0, 8, 3, 0)] */
v_mov_b32 v26, v[vgprValuC+10]                     // store Cr
v_mul_f32 v[vgprValuC+10], s[sgprAlpha], v[vgprValuC+10] // *= alpha ( Cr = Ar * Cr)
_v_mac_f32 v[vgprValuC+10], -s[sgprAlpha+1], v[vgprValuC+11] // *= alpha ( Cr += -Ai * Ci )
v_mul_f32 v[vgprValuC+11], s[sgprAlpha], v[vgprValuC+11] // *= alpha ( Ci = Ar * Ci)
_v_mac_f32 v[vgprValuC+11], s[sgprAlpha+1], v26    // *= alpha ( Ci += Ai * Cr_backup )
v_mov_b32 v26, v[vgprValuC+14]                     // store Cr
v_mul_f32 v[vgprValuC+14], s[sgprAlpha], v[vgprValuC+14] // *= alpha ( Cr = Ar * Cr)
_v_mac_f32 v[vgprValuC+14], -s[sgprAlpha+1], v[vgprValuC+15] // *= alpha ( Cr += -Ai * Ci )
v_mul_f32 v[vgprValuC+15], s[sgprAlpha], v[vgprValuC+15] // *= alpha ( Ci = Ar * Ci)
_v_mac_f32 v[vgprValuC+15], s[sgprAlpha+1], v26    // *= alpha ( Ci += Ai * Cr_backup )
	;; [unrolled: 5-line block ×4, first 2 shown]
s_waitcnt vmcnt(0)                                 // wait C

/* apply mask, calc new C and issue writes */
_v_mac_f32 v[vgprValuC+10], v8, s[sgprBeta]        // finalSum Cr += old Cr * Br
_v_mac_f32 v[vgprValuC+10], v9, -s[sgprBeta+1]     // finalSum Cr += old Ci * -Bi
_v_mac_f32 v[vgprValuC+11], v9, s[sgprBeta]        // finalSum Ci += old Ci * Br
_v_mac_f32 v[vgprValuC+11], v8, s[sgprBeta+1]      // finalSum Ci += old Cr * Bi
_buffer_store_b64 v[10:11], v6, s[sgprSrdD:sgprSrdD+3], 0, offen, offset:0,  nt // store D
_v_mac_f32 v[vgprValuC+14], v12, s[sgprBeta]       // finalSum Cr += old Cr * Br
_v_mac_f32 v[vgprValuC+14], v13, -s[sgprBeta+1]    // finalSum Cr += old Ci * -Bi
_v_mac_f32 v[vgprValuC+15], v13, s[sgprBeta]       // finalSum Ci += old Ci * Br
_v_mac_f32 v[vgprValuC+15], v12, s[sgprBeta+1]     // finalSum Ci += old Cr * Bi
_buffer_store_b64 v[14:15], v7, s[sgprSrdD:sgprSrdD+3], 0, offen, offset:0,  nt // store D
_v_mac_f32 v[vgprValuC+20], v18, s[sgprBeta]       // finalSum Cr += old Cr * Br
_v_mac_f32 v[vgprValuC+20], v19, -s[sgprBeta+1]    // finalSum Cr += old Ci * -Bi
_v_mac_f32 v[vgprValuC+21], v19, s[sgprBeta]       // finalSum Ci += old Ci * Br
_v_mac_f32 v[vgprValuC+21], v18, s[sgprBeta+1]     // finalSum Ci += old Cr * Bi
	;; [unrolled: 5-line block ×3, first 2 shown]
_buffer_store_b64 v[24:25], v17, s[sgprSrdD:sgprSrdD+3], 0, offen, offset:0,  nt // store D
s_nop 0                                            // 1 wait state required when next inst writes vgprs held by previous dwordx4 store inst
/* optSingleColVgpr=0 optSharedColVgpr=0 optSGPRUsage=BufferLoad_Edge_Mask optSrdIncForRow=0 */
s_sleep 3 // optimization: sync and wait
s_barrier

/******************************************/
/* Global Write Alpha Beta Edge Batch #9 (d1,d0,vc1,vc0) = */
/*    (1,0,0,0:vw1); (1,1,0,0:vw1); (1,2,0,0:vw1); (1,3,0,0:vw1) */
/******************************************/

/* calc coords, apply mask, and issue loads (if necessary) */
/* (d1,vc1,d0,vc0)=(1,0,0,0) */
_v_add_co_u32 v1, vcc, v1, 61                      // coord1.1: coord1Vgpr += d1*sg1*VW + vc1

/* Fix for UseInitialStridesCD, emitAddressSetupCode */
s_mul_i32 s56, s[sgprStrideC1J], 61                // scale stride
_v_add_u32 v2, v2, s56                             // ROWINC- Move cinRowPtr to next row
s_mul_i32 s56, s[sgprStrideD1J], 61                // scale stride
_v_add_u32 v3, v3, s56                             // Move coutRowPtr to next row
v_cmp_lt_u32 s[56:57], v0, s[sgprSizeI]            // coord0 < size0
v_cmp_lt_u32 s[60:61], v1, s[sgprSizeJ]            // coord1 < size1
s_and_b64 s[60:61], s[56:57], s[60:61]             // in0 && in1
_v_add_lshl_u32 v6, v2, v0, 0x3                    // scaleToBpe: accumulate d0 lower and *= bpe into Cin addr
v_cndmask_b32 v6, -1, v6, s[60:61]                 // LDC clip if OOB. offset
_buffer_load_b64 v[8:9], v6, s[sgprSrdC:sgprSrdC+3], 0, offen offset:0,  nt // load C for beta calc
_v_add_lshl_u32 v6, v3, v0, 0x3                    // scaleToBpe: accumulate d0 lower and *= bpe into Cin addr
v_cndmask_b32 v6, -1, v6, s[60:61]                 // LDD clip if OOB. offset
/* (d1,vc1,d0,vc0)=(1,0,1,0) */
_v_add_co_u32 v4, vcc, v0, 16                      // coord0.1: coord0 += d0*sg0*VW + vc0
v_cmp_lt_u32 s[56:57], v4, s[sgprSizeI]            // coord0 < size0
v_cmp_lt_u32 s[60:61], v1, s[sgprSizeJ]            // coord1 < size1
s_and_b64 s[60:61], s[56:57], s[60:61]             // in0 && in1
_v_add_lshl_u32 v7, v2, v4, 0x3                    // scaleToBpe: accumulate d0 lower and *= bpe into Cin addr
v_cndmask_b32 v7, -1, v7, s[60:61]                 // LDC clip if OOB. offset
_buffer_load_b64 v[12:13], v7, s[sgprSrdC:sgprSrdC+3], 0, offen offset:0,  nt // load C for beta calc
_v_add_lshl_u32 v7, v3, v4, 0x3                    // scaleToBpe: accumulate d0 lower and *= bpe into Cin addr
v_cndmask_b32 v7, -1, v7, s[60:61]                 // LDD clip if OOB. offset
/* (d1,vc1,d0,vc0)=(1,0,2,0) */
_v_add_co_u32 v4, vcc, v0, 32                      // coord0.1: coord0 += d0*sg0*VW + vc0
v_cmp_lt_u32 s[56:57], v4, s[sgprSizeI]            // coord0 < size0
v_cmp_lt_u32 s[60:61], v1, s[sgprSizeJ]            // coord1 < size1
s_and_b64 s[60:61], s[56:57], s[60:61]             // in0 && in1
_v_add_lshl_u32 v16, v2, v4, 0x3                   // scaleToBpe: accumulate d0 lower and *= bpe into Cin addr
v_cndmask_b32 v16, -1, v16, s[60:61]               // LDC clip if OOB. offset
_buffer_load_b64 v[18:19], v16, s[sgprSrdC:sgprSrdC+3], 0, offen offset:0,  nt // load C for beta calc
_v_add_lshl_u32 v16, v3, v4, 0x3                   // scaleToBpe: accumulate d0 lower and *= bpe into Cin addr
v_cndmask_b32 v16, -1, v16, s[60:61]               // LDD clip if OOB. offset
/* (d1,vc1,d0,vc0)=(1,0,3,0) */
_v_add_co_u32 v4, vcc, v0, 48                      // coord0.1: coord0 += d0*sg0*VW + vc0
v_cmp_lt_u32 s[56:57], v4, s[sgprSizeI]            // coord0 < size0
v_cmp_lt_u32 s[60:61], v1, s[sgprSizeJ]            // coord1 < size1
s_and_b64 s[60:61], s[56:57], s[60:61]             // in0 && in1
_v_add_lshl_u32 v17, v2, v4, 0x3                   // scaleToBpe: accumulate d0 lower and *= bpe into Cin addr
v_cndmask_b32 v17, -1, v17, s[60:61]               // LDC clip if OOB. offset
_buffer_load_b64 v[22:23], v17, s[sgprSrdC:sgprSrdC+3], 0, offen offset:0,  nt // load C for beta calc
_v_add_lshl_u32 v17, v3, v4, 0x3                   // scaleToBpe: accumulate d0 lower and *= bpe into Cin addr
v_cndmask_b32 v17, -1, v17, s[60:61]               // LDD clip if OOB. offset
s_sleep 3 // optimization: sync and wait
s_barrier
v_accvgpr_read_b32 v[vgprValuC+10], acc36 // copy acc to vreg[72]
v_accvgpr_read_b32 v[vgprValuC+11], acc108 // copy acc to vreg[73]
v_accvgpr_read_b32 v[vgprValuC+14], acc40 // copy acc to vreg[74]
v_accvgpr_read_b32 v[vgprValuC+15], acc112 // copy acc to vreg[75]
v_accvgpr_read_b32 v[vgprValuC+20], acc44 // copy acc to vreg[76]
v_accvgpr_read_b32 v[vgprValuC+21], acc116 // copy acc to vreg[77]
v_accvgpr_read_b32 v[vgprValuC+24], acc48 // copy acc to vreg[78]
v_accvgpr_read_b32 v[vgprValuC+25], acc120 // copy acc to vreg[79]
s_nop 1                                            // 2 wait states required before reading vgpr

/* rC *= alpha batchElements=[(1, 0, 0, 0), (1, 1, 0, 0), (1, 2, 0, 0), (1, 3, 0, 0)] */
v_mov_b32 v26, v[vgprValuC+10]                     // store Cr
v_mul_f32 v[vgprValuC+10], s[sgprAlpha], v[vgprValuC+10] // *= alpha ( Cr = Ar * Cr)
_v_mac_f32 v[vgprValuC+10], -s[sgprAlpha+1], v[vgprValuC+11] // *= alpha ( Cr += -Ai * Ci )
v_mul_f32 v[vgprValuC+11], s[sgprAlpha], v[vgprValuC+11] // *= alpha ( Ci = Ar * Ci)
_v_mac_f32 v[vgprValuC+11], s[sgprAlpha+1], v26    // *= alpha ( Ci += Ai * Cr_backup )
v_mov_b32 v26, v[vgprValuC+14]                     // store Cr
v_mul_f32 v[vgprValuC+14], s[sgprAlpha], v[vgprValuC+14] // *= alpha ( Cr = Ar * Cr)
_v_mac_f32 v[vgprValuC+14], -s[sgprAlpha+1], v[vgprValuC+15] // *= alpha ( Cr += -Ai * Ci )
v_mul_f32 v[vgprValuC+15], s[sgprAlpha], v[vgprValuC+15] // *= alpha ( Ci = Ar * Ci)
_v_mac_f32 v[vgprValuC+15], s[sgprAlpha+1], v26    // *= alpha ( Ci += Ai * Cr_backup )
	;; [unrolled: 5-line block ×4, first 2 shown]
s_waitcnt vmcnt(0)                                 // wait C

/* apply mask, calc new C and issue writes */
_v_mac_f32 v[vgprValuC+10], v8, s[sgprBeta]        // finalSum Cr += old Cr * Br
_v_mac_f32 v[vgprValuC+10], v9, -s[sgprBeta+1]     // finalSum Cr += old Ci * -Bi
_v_mac_f32 v[vgprValuC+11], v9, s[sgprBeta]        // finalSum Ci += old Ci * Br
_v_mac_f32 v[vgprValuC+11], v8, s[sgprBeta+1]      // finalSum Ci += old Cr * Bi
_buffer_store_b64 v[10:11], v6, s[sgprSrdD:sgprSrdD+3], 0, offen, offset:0,  nt // store D
_v_mac_f32 v[vgprValuC+14], v12, s[sgprBeta]       // finalSum Cr += old Cr * Br
_v_mac_f32 v[vgprValuC+14], v13, -s[sgprBeta+1]    // finalSum Cr += old Ci * -Bi
_v_mac_f32 v[vgprValuC+15], v13, s[sgprBeta]       // finalSum Ci += old Ci * Br
_v_mac_f32 v[vgprValuC+15], v12, s[sgprBeta+1]     // finalSum Ci += old Cr * Bi
_buffer_store_b64 v[14:15], v7, s[sgprSrdD:sgprSrdD+3], 0, offen, offset:0,  nt // store D
_v_mac_f32 v[vgprValuC+20], v18, s[sgprBeta]       // finalSum Cr += old Cr * Br
_v_mac_f32 v[vgprValuC+20], v19, -s[sgprBeta+1]    // finalSum Cr += old Ci * -Bi
_v_mac_f32 v[vgprValuC+21], v19, s[sgprBeta]       // finalSum Ci += old Ci * Br
_v_mac_f32 v[vgprValuC+21], v18, s[sgprBeta+1]     // finalSum Ci += old Cr * Bi
	;; [unrolled: 5-line block ×3, first 2 shown]
_buffer_store_b64 v[24:25], v17, s[sgprSrdD:sgprSrdD+3], 0, offen, offset:0,  nt // store D
s_nop 0                                            // 1 wait state required when next inst writes vgprs held by previous dwordx4 store inst
/* optSingleColVgpr=0 optSharedColVgpr=0 optSGPRUsage=BufferLoad_Edge_Mask optSrdIncForRow=0 */
s_sleep 3 // optimization: sync and wait
s_barrier

/******************************************/
/* Global Write Alpha Beta Edge Batch #10 (d1,d0,vc1,vc0) = */
/*    (1,4,0,0:vw1); (1,5,0,0:vw1); (1,6,0,0:vw1); (1,7,0,0:vw1) */
/******************************************/

/* calc coords, apply mask, and issue loads (if necessary) */
/* (d1,vc1,d0,vc0)=(1,0,4,0) */
_v_add_co_u32 v4, vcc, v0, 64                      // coord0.1: coord0 += d0*sg0*VW + vc0
v_cmp_lt_u32 s[56:57], v4, s[sgprSizeI]            // coord0 < size0
v_cmp_lt_u32 s[60:61], v1, s[sgprSizeJ]            // coord1 < size1
s_and_b64 s[60:61], s[56:57], s[60:61]             // in0 && in1
_v_add_lshl_u32 v6, v2, v4, 0x3                    // scaleToBpe: accumulate d0 lower and *= bpe into Cin addr
v_cndmask_b32 v6, -1, v6, s[60:61]                 // LDC clip if OOB. offset
_buffer_load_b64 v[8:9], v6, s[sgprSrdC:sgprSrdC+3], 0, offen offset:0,  nt // load C for beta calc
_v_add_lshl_u32 v6, v3, v4, 0x3                    // scaleToBpe: accumulate d0 lower and *= bpe into Cin addr
v_cndmask_b32 v6, -1, v6, s[60:61]                 // LDD clip if OOB. offset
/* (d1,vc1,d0,vc0)=(1,0,5,0) */
s_mov_b32 s56, 80                                  // coordOffset0 d0=5 vc0=0
_v_add_co_u32 v4, vcc, v0, s56                     // coord0.2: coord0 += d0*sg0*VW + vc0
v_cmp_lt_u32 s[56:57], v4, s[sgprSizeI]            // coord0 < size0
v_cmp_lt_u32 s[60:61], v1, s[sgprSizeJ]            // coord1 < size1
s_and_b64 s[60:61], s[56:57], s[60:61]             // in0 && in1
_v_add_lshl_u32 v7, v2, v4, 0x3                    // scaleToBpe: accumulate d0 lower and *= bpe into Cin addr
v_cndmask_b32 v7, -1, v7, s[60:61]                 // LDC clip if OOB. offset
_buffer_load_b64 v[12:13], v7, s[sgprSrdC:sgprSrdC+3], 0, offen offset:0,  nt // load C for beta calc
_v_add_lshl_u32 v7, v3, v4, 0x3                    // scaleToBpe: accumulate d0 lower and *= bpe into Cin addr
v_cndmask_b32 v7, -1, v7, s[60:61]                 // LDD clip if OOB. offset
/* (d1,vc1,d0,vc0)=(1,0,6,0) */
s_mov_b32 s56, 96                                  // coordOffset0 d0=6 vc0=0
_v_add_co_u32 v4, vcc, v0, s56                     // coord0.2: coord0 += d0*sg0*VW + vc0
v_cmp_lt_u32 s[56:57], v4, s[sgprSizeI]            // coord0 < size0
v_cmp_lt_u32 s[60:61], v1, s[sgprSizeJ]            // coord1 < size1
s_and_b64 s[60:61], s[56:57], s[60:61]             // in0 && in1
_v_add_lshl_u32 v16, v2, v4, 0x3                   // scaleToBpe: accumulate d0 lower and *= bpe into Cin addr
v_cndmask_b32 v16, -1, v16, s[60:61]               // LDC clip if OOB. offset
_buffer_load_b64 v[18:19], v16, s[sgprSrdC:sgprSrdC+3], 0, offen offset:0,  nt // load C for beta calc
_v_add_lshl_u32 v16, v3, v4, 0x3                   // scaleToBpe: accumulate d0 lower and *= bpe into Cin addr
v_cndmask_b32 v16, -1, v16, s[60:61]               // LDD clip if OOB. offset
/* (d1,vc1,d0,vc0)=(1,0,7,0) */
s_mov_b32 s56, 112                                 // coordOffset0 d0=7 vc0=0
_v_add_co_u32 v4, vcc, v0, s56                     // coord0.2: coord0 += d0*sg0*VW + vc0
v_cmp_lt_u32 s[56:57], v4, s[sgprSizeI]            // coord0 < size0
v_cmp_lt_u32 s[60:61], v1, s[sgprSizeJ]            // coord1 < size1
s_and_b64 s[60:61], s[56:57], s[60:61]             // in0 && in1
_v_add_lshl_u32 v17, v2, v4, 0x3                   // scaleToBpe: accumulate d0 lower and *= bpe into Cin addr
v_cndmask_b32 v17, -1, v17, s[60:61]               // LDC clip if OOB. offset
_buffer_load_b64 v[22:23], v17, s[sgprSrdC:sgprSrdC+3], 0, offen offset:0,  nt // load C for beta calc
_v_add_lshl_u32 v17, v3, v4, 0x3                   // scaleToBpe: accumulate d0 lower and *= bpe into Cin addr
v_cndmask_b32 v17, -1, v17, s[60:61]               // LDD clip if OOB. offset
s_sleep 3 // optimization: sync and wait
s_barrier
v_accvgpr_read_b32 v[vgprValuC+10], acc52 // copy acc to vreg[80]
v_accvgpr_read_b32 v[vgprValuC+11], acc124 // copy acc to vreg[81]
v_accvgpr_read_b32 v[vgprValuC+14], acc56 // copy acc to vreg[82]
v_accvgpr_read_b32 v[vgprValuC+15], acc128 // copy acc to vreg[83]
v_accvgpr_read_b32 v[vgprValuC+20], acc60 // copy acc to vreg[84]
v_accvgpr_read_b32 v[vgprValuC+21], acc132 // copy acc to vreg[85]
v_accvgpr_read_b32 v[vgprValuC+24], acc64 // copy acc to vreg[86]
v_accvgpr_read_b32 v[vgprValuC+25], acc136 // copy acc to vreg[87]
s_nop 1                                            // 2 wait states required before reading vgpr

/* rC *= alpha batchElements=[(1, 4, 0, 0), (1, 5, 0, 0), (1, 6, 0, 0), (1, 7, 0, 0)] */
v_mov_b32 v26, v[vgprValuC+10]                     // store Cr
v_mul_f32 v[vgprValuC+10], s[sgprAlpha], v[vgprValuC+10] // *= alpha ( Cr = Ar * Cr)
_v_mac_f32 v[vgprValuC+10], -s[sgprAlpha+1], v[vgprValuC+11] // *= alpha ( Cr += -Ai * Ci )
v_mul_f32 v[vgprValuC+11], s[sgprAlpha], v[vgprValuC+11] // *= alpha ( Ci = Ar * Ci)
_v_mac_f32 v[vgprValuC+11], s[sgprAlpha+1], v26    // *= alpha ( Ci += Ai * Cr_backup )
v_mov_b32 v26, v[vgprValuC+14]                     // store Cr
v_mul_f32 v[vgprValuC+14], s[sgprAlpha], v[vgprValuC+14] // *= alpha ( Cr = Ar * Cr)
_v_mac_f32 v[vgprValuC+14], -s[sgprAlpha+1], v[vgprValuC+15] // *= alpha ( Cr += -Ai * Ci )
v_mul_f32 v[vgprValuC+15], s[sgprAlpha], v[vgprValuC+15] // *= alpha ( Ci = Ar * Ci)
_v_mac_f32 v[vgprValuC+15], s[sgprAlpha+1], v26    // *= alpha ( Ci += Ai * Cr_backup )
	;; [unrolled: 5-line block ×4, first 2 shown]
s_waitcnt vmcnt(0)                                 // wait C

/* apply mask, calc new C and issue writes */
_v_mac_f32 v[vgprValuC+10], v8, s[sgprBeta]        // finalSum Cr += old Cr * Br
_v_mac_f32 v[vgprValuC+10], v9, -s[sgprBeta+1]     // finalSum Cr += old Ci * -Bi
_v_mac_f32 v[vgprValuC+11], v9, s[sgprBeta]        // finalSum Ci += old Ci * Br
_v_mac_f32 v[vgprValuC+11], v8, s[sgprBeta+1]      // finalSum Ci += old Cr * Bi
_buffer_store_b64 v[10:11], v6, s[sgprSrdD:sgprSrdD+3], 0, offen, offset:0,  nt // store D
_v_mac_f32 v[vgprValuC+14], v12, s[sgprBeta]       // finalSum Cr += old Cr * Br
_v_mac_f32 v[vgprValuC+14], v13, -s[sgprBeta+1]    // finalSum Cr += old Ci * -Bi
_v_mac_f32 v[vgprValuC+15], v13, s[sgprBeta]       // finalSum Ci += old Ci * Br
_v_mac_f32 v[vgprValuC+15], v12, s[sgprBeta+1]     // finalSum Ci += old Cr * Bi
_buffer_store_b64 v[14:15], v7, s[sgprSrdD:sgprSrdD+3], 0, offen, offset:0,  nt // store D
_v_mac_f32 v[vgprValuC+20], v18, s[sgprBeta]       // finalSum Cr += old Cr * Br
_v_mac_f32 v[vgprValuC+20], v19, -s[sgprBeta+1]    // finalSum Cr += old Ci * -Bi
_v_mac_f32 v[vgprValuC+21], v19, s[sgprBeta]       // finalSum Ci += old Ci * Br
_v_mac_f32 v[vgprValuC+21], v18, s[sgprBeta+1]     // finalSum Ci += old Cr * Bi
	;; [unrolled: 5-line block ×3, first 2 shown]
_buffer_store_b64 v[24:25], v17, s[sgprSrdD:sgprSrdD+3], 0, offen, offset:0,  nt // store D
s_nop 0                                            // 1 wait state required when next inst writes vgprs held by previous dwordx4 store inst
/* optSingleColVgpr=0 optSharedColVgpr=0 optSGPRUsage=BufferLoad_Edge_Mask optSrdIncForRow=0 */
s_sleep 3 // optimization: sync and wait
s_barrier

/******************************************/
/* Global Write Alpha Beta Edge Batch #11 (d1,d0,vc1,vc0) = */
/*    (1,8,0,0:vw1); (1,0,1,0:vw1); (1,1,1,0:vw1); (1,2,1,0:vw1) */
/******************************************/

/* calc coords, apply mask, and issue loads (if necessary) */
/* (d1,vc1,d0,vc0)=(1,0,8,0) */
s_mov_b32 s56, 128                                 // coordOffset0 d0=8 vc0=0
_v_add_co_u32 v4, vcc, v0, s56                     // coord0.2: coord0 += d0*sg0*VW + vc0
v_cmp_lt_u32 s[56:57], v4, s[sgprSizeI]            // coord0 < size0
v_cmp_lt_u32 s[60:61], v1, s[sgprSizeJ]            // coord1 < size1
s_and_b64 s[60:61], s[56:57], s[60:61]             // in0 && in1
_v_add_lshl_u32 v6, v2, v4, 0x3                    // scaleToBpe: accumulate d0 lower and *= bpe into Cin addr
v_cndmask_b32 v6, -1, v6, s[60:61]                 // LDC clip if OOB. offset
_buffer_load_b64 v[8:9], v6, s[sgprSrdC:sgprSrdC+3], 0, offen offset:0,  nt // load C for beta calc
_v_add_lshl_u32 v6, v3, v4, 0x3                    // scaleToBpe: accumulate d0 lower and *= bpe into Cin addr
v_cndmask_b32 v6, -1, v6, s[60:61]                 // LDD clip if OOB. offset
/* (d1,vc1,d0,vc0)=(1,1,0,0) */
_v_add_co_u32 v1, vcc, v1, 1                       // coord1.1: coord1Vgpr += d1*sg1*VW + vc1

/* Fix for UseInitialStridesCD, emitAddressSetupCode */
_v_add_u32 v2, v2, s[sgprStrideC1J]                // ROWINC- Move cinRowPtr to next row
_v_add_u32 v3, v3, s[sgprStrideD1J]                // Move coutRowPtr to next row
v_cmp_lt_u32 s[56:57], v0, s[sgprSizeI]            // coord0 < size0
v_cmp_lt_u32 s[60:61], v1, s[sgprSizeJ]            // coord1 < size1
s_and_b64 s[60:61], s[56:57], s[60:61]             // in0 && in1
_v_add_lshl_u32 v7, v2, v0, 0x3                    // scaleToBpe: accumulate d0 lower and *= bpe into Cin addr
v_cndmask_b32 v7, -1, v7, s[60:61]                 // LDC clip if OOB. offset
_buffer_load_b64 v[12:13], v7, s[sgprSrdC:sgprSrdC+3], 0, offen offset:0,  nt // load C for beta calc
_v_add_lshl_u32 v7, v3, v0, 0x3                    // scaleToBpe: accumulate d0 lower and *= bpe into Cin addr
v_cndmask_b32 v7, -1, v7, s[60:61]                 // LDD clip if OOB. offset
/* (d1,vc1,d0,vc0)=(1,1,1,0) */
_v_add_co_u32 v4, vcc, v0, 16                      // coord0.1: coord0 += d0*sg0*VW + vc0
v_cmp_lt_u32 s[56:57], v4, s[sgprSizeI]            // coord0 < size0
v_cmp_lt_u32 s[60:61], v1, s[sgprSizeJ]            // coord1 < size1
s_and_b64 s[60:61], s[56:57], s[60:61]             // in0 && in1
_v_add_lshl_u32 v16, v2, v4, 0x3                   // scaleToBpe: accumulate d0 lower and *= bpe into Cin addr
v_cndmask_b32 v16, -1, v16, s[60:61]               // LDC clip if OOB. offset
_buffer_load_b64 v[18:19], v16, s[sgprSrdC:sgprSrdC+3], 0, offen offset:0,  nt // load C for beta calc
_v_add_lshl_u32 v16, v3, v4, 0x3                   // scaleToBpe: accumulate d0 lower and *= bpe into Cin addr
v_cndmask_b32 v16, -1, v16, s[60:61]               // LDD clip if OOB. offset
/* (d1,vc1,d0,vc0)=(1,1,2,0) */
_v_add_co_u32 v4, vcc, v0, 32                      // coord0.1: coord0 += d0*sg0*VW + vc0
v_cmp_lt_u32 s[56:57], v4, s[sgprSizeI]            // coord0 < size0
v_cmp_lt_u32 s[60:61], v1, s[sgprSizeJ]            // coord1 < size1
s_and_b64 s[60:61], s[56:57], s[60:61]             // in0 && in1
_v_add_lshl_u32 v17, v2, v4, 0x3                   // scaleToBpe: accumulate d0 lower and *= bpe into Cin addr
v_cndmask_b32 v17, -1, v17, s[60:61]               // LDC clip if OOB. offset
_buffer_load_b64 v[22:23], v17, s[sgprSrdC:sgprSrdC+3], 0, offen offset:0,  nt // load C for beta calc
_v_add_lshl_u32 v17, v3, v4, 0x3                   // scaleToBpe: accumulate d0 lower and *= bpe into Cin addr
v_cndmask_b32 v17, -1, v17, s[60:61]               // LDD clip if OOB. offset
s_sleep 3 // optimization: sync and wait
s_barrier
v_accvgpr_read_b32 v[vgprValuC+10], acc68 // copy acc to vreg[88]
v_accvgpr_read_b32 v[vgprValuC+11], acc140 // copy acc to vreg[89]
v_accvgpr_read_b32 v[vgprValuC+14], acc37 // copy acc to vreg[90]
v_accvgpr_read_b32 v[vgprValuC+15], acc109 // copy acc to vreg[91]
v_accvgpr_read_b32 v[vgprValuC+20], acc41 // copy acc to vreg[92]
v_accvgpr_read_b32 v[vgprValuC+21], acc113 // copy acc to vreg[93]
v_accvgpr_read_b32 v[vgprValuC+24], acc45 // copy acc to vreg[94]
v_accvgpr_read_b32 v[vgprValuC+25], acc117 // copy acc to vreg[95]
s_nop 1                                            // 2 wait states required before reading vgpr

/* rC *= alpha batchElements=[(1, 8, 0, 0), (1, 0, 1, 0), (1, 1, 1, 0), (1, 2, 1, 0)] */
v_mov_b32 v26, v[vgprValuC+10]                     // store Cr
v_mul_f32 v[vgprValuC+10], s[sgprAlpha], v[vgprValuC+10] // *= alpha ( Cr = Ar * Cr)
_v_mac_f32 v[vgprValuC+10], -s[sgprAlpha+1], v[vgprValuC+11] // *= alpha ( Cr += -Ai * Ci )
v_mul_f32 v[vgprValuC+11], s[sgprAlpha], v[vgprValuC+11] // *= alpha ( Ci = Ar * Ci)
_v_mac_f32 v[vgprValuC+11], s[sgprAlpha+1], v26    // *= alpha ( Ci += Ai * Cr_backup )
v_mov_b32 v26, v[vgprValuC+14]                     // store Cr
v_mul_f32 v[vgprValuC+14], s[sgprAlpha], v[vgprValuC+14] // *= alpha ( Cr = Ar * Cr)
_v_mac_f32 v[vgprValuC+14], -s[sgprAlpha+1], v[vgprValuC+15] // *= alpha ( Cr += -Ai * Ci )
v_mul_f32 v[vgprValuC+15], s[sgprAlpha], v[vgprValuC+15] // *= alpha ( Ci = Ar * Ci)
_v_mac_f32 v[vgprValuC+15], s[sgprAlpha+1], v26    // *= alpha ( Ci += Ai * Cr_backup )
	;; [unrolled: 5-line block ×4, first 2 shown]
s_waitcnt vmcnt(0)                                 // wait C

/* apply mask, calc new C and issue writes */
_v_mac_f32 v[vgprValuC+10], v8, s[sgprBeta]        // finalSum Cr += old Cr * Br
_v_mac_f32 v[vgprValuC+10], v9, -s[sgprBeta+1]     // finalSum Cr += old Ci * -Bi
_v_mac_f32 v[vgprValuC+11], v9, s[sgprBeta]        // finalSum Ci += old Ci * Br
_v_mac_f32 v[vgprValuC+11], v8, s[sgprBeta+1]      // finalSum Ci += old Cr * Bi
_buffer_store_b64 v[10:11], v6, s[sgprSrdD:sgprSrdD+3], 0, offen, offset:0,  nt // store D
_v_mac_f32 v[vgprValuC+14], v12, s[sgprBeta]       // finalSum Cr += old Cr * Br
_v_mac_f32 v[vgprValuC+14], v13, -s[sgprBeta+1]    // finalSum Cr += old Ci * -Bi
_v_mac_f32 v[vgprValuC+15], v13, s[sgprBeta]       // finalSum Ci += old Ci * Br
_v_mac_f32 v[vgprValuC+15], v12, s[sgprBeta+1]     // finalSum Ci += old Cr * Bi
_buffer_store_b64 v[14:15], v7, s[sgprSrdD:sgprSrdD+3], 0, offen, offset:0,  nt // store D
_v_mac_f32 v[vgprValuC+20], v18, s[sgprBeta]       // finalSum Cr += old Cr * Br
_v_mac_f32 v[vgprValuC+20], v19, -s[sgprBeta+1]    // finalSum Cr += old Ci * -Bi
_v_mac_f32 v[vgprValuC+21], v19, s[sgprBeta]       // finalSum Ci += old Ci * Br
_v_mac_f32 v[vgprValuC+21], v18, s[sgprBeta+1]     // finalSum Ci += old Cr * Bi
	;; [unrolled: 5-line block ×3, first 2 shown]
_buffer_store_b64 v[24:25], v17, s[sgprSrdD:sgprSrdD+3], 0, offen, offset:0,  nt // store D
s_nop 0                                            // 1 wait state required when next inst writes vgprs held by previous dwordx4 store inst
/* optSingleColVgpr=0 optSharedColVgpr=0 optSGPRUsage=BufferLoad_Edge_Mask optSrdIncForRow=0 */
s_sleep 3 // optimization: sync and wait
s_barrier

/******************************************/
/* Global Write Alpha Beta Edge Batch #12 (d1,d0,vc1,vc0) = */
/*    (1,3,1,0:vw1); (1,4,1,0:vw1); (1,5,1,0:vw1); (1,6,1,0:vw1) */
/******************************************/

/* calc coords, apply mask, and issue loads (if necessary) */
/* (d1,vc1,d0,vc0)=(1,1,3,0) */
_v_add_co_u32 v4, vcc, v0, 48                      // coord0.1: coord0 += d0*sg0*VW + vc0
v_cmp_lt_u32 s[56:57], v4, s[sgprSizeI]            // coord0 < size0
v_cmp_lt_u32 s[60:61], v1, s[sgprSizeJ]            // coord1 < size1
s_and_b64 s[60:61], s[56:57], s[60:61]             // in0 && in1
_v_add_lshl_u32 v6, v2, v4, 0x3                    // scaleToBpe: accumulate d0 lower and *= bpe into Cin addr
v_cndmask_b32 v6, -1, v6, s[60:61]                 // LDC clip if OOB. offset
_buffer_load_b64 v[8:9], v6, s[sgprSrdC:sgprSrdC+3], 0, offen offset:0,  nt // load C for beta calc
_v_add_lshl_u32 v6, v3, v4, 0x3                    // scaleToBpe: accumulate d0 lower and *= bpe into Cin addr
v_cndmask_b32 v6, -1, v6, s[60:61]                 // LDD clip if OOB. offset
/* (d1,vc1,d0,vc0)=(1,1,4,0) */
_v_add_co_u32 v4, vcc, v0, 64                      // coord0.1: coord0 += d0*sg0*VW + vc0
v_cmp_lt_u32 s[56:57], v4, s[sgprSizeI]            // coord0 < size0
v_cmp_lt_u32 s[60:61], v1, s[sgprSizeJ]            // coord1 < size1
s_and_b64 s[60:61], s[56:57], s[60:61]             // in0 && in1
_v_add_lshl_u32 v7, v2, v4, 0x3                    // scaleToBpe: accumulate d0 lower and *= bpe into Cin addr
v_cndmask_b32 v7, -1, v7, s[60:61]                 // LDC clip if OOB. offset
_buffer_load_b64 v[12:13], v7, s[sgprSrdC:sgprSrdC+3], 0, offen offset:0,  nt // load C for beta calc
_v_add_lshl_u32 v7, v3, v4, 0x3                    // scaleToBpe: accumulate d0 lower and *= bpe into Cin addr
v_cndmask_b32 v7, -1, v7, s[60:61]                 // LDD clip if OOB. offset
/* (d1,vc1,d0,vc0)=(1,1,5,0) */
s_mov_b32 s56, 80                                  // coordOffset0 d0=5 vc0=0
_v_add_co_u32 v4, vcc, v0, s56                     // coord0.2: coord0 += d0*sg0*VW + vc0
v_cmp_lt_u32 s[56:57], v4, s[sgprSizeI]            // coord0 < size0
v_cmp_lt_u32 s[60:61], v1, s[sgprSizeJ]            // coord1 < size1
s_and_b64 s[60:61], s[56:57], s[60:61]             // in0 && in1
_v_add_lshl_u32 v16, v2, v4, 0x3                   // scaleToBpe: accumulate d0 lower and *= bpe into Cin addr
v_cndmask_b32 v16, -1, v16, s[60:61]               // LDC clip if OOB. offset
_buffer_load_b64 v[18:19], v16, s[sgprSrdC:sgprSrdC+3], 0, offen offset:0,  nt // load C for beta calc
_v_add_lshl_u32 v16, v3, v4, 0x3                   // scaleToBpe: accumulate d0 lower and *= bpe into Cin addr
v_cndmask_b32 v16, -1, v16, s[60:61]               // LDD clip if OOB. offset
/* (d1,vc1,d0,vc0)=(1,1,6,0) */
s_mov_b32 s56, 96                                  // coordOffset0 d0=6 vc0=0
_v_add_co_u32 v4, vcc, v0, s56                     // coord0.2: coord0 += d0*sg0*VW + vc0
v_cmp_lt_u32 s[56:57], v4, s[sgprSizeI]            // coord0 < size0
v_cmp_lt_u32 s[60:61], v1, s[sgprSizeJ]            // coord1 < size1
s_and_b64 s[60:61], s[56:57], s[60:61]             // in0 && in1
_v_add_lshl_u32 v17, v2, v4, 0x3                   // scaleToBpe: accumulate d0 lower and *= bpe into Cin addr
v_cndmask_b32 v17, -1, v17, s[60:61]               // LDC clip if OOB. offset
_buffer_load_b64 v[22:23], v17, s[sgprSrdC:sgprSrdC+3], 0, offen offset:0,  nt // load C for beta calc
_v_add_lshl_u32 v17, v3, v4, 0x3                   // scaleToBpe: accumulate d0 lower and *= bpe into Cin addr
v_cndmask_b32 v17, -1, v17, s[60:61]               // LDD clip if OOB. offset
s_sleep 3 // optimization: sync and wait
s_barrier
v_accvgpr_read_b32 v[vgprValuC+10], acc49 // copy acc to vreg[96]
v_accvgpr_read_b32 v[vgprValuC+11], acc121 // copy acc to vreg[97]
v_accvgpr_read_b32 v[vgprValuC+14], acc53 // copy acc to vreg[98]
v_accvgpr_read_b32 v[vgprValuC+15], acc125 // copy acc to vreg[99]
v_accvgpr_read_b32 v[vgprValuC+20], acc57 // copy acc to vreg[100]
v_accvgpr_read_b32 v[vgprValuC+21], acc129 // copy acc to vreg[101]
v_accvgpr_read_b32 v[vgprValuC+24], acc61 // copy acc to vreg[102]
v_accvgpr_read_b32 v[vgprValuC+25], acc133 // copy acc to vreg[103]
s_nop 1                                            // 2 wait states required before reading vgpr

/* rC *= alpha batchElements=[(1, 3, 1, 0), (1, 4, 1, 0), (1, 5, 1, 0), (1, 6, 1, 0)] */
v_mov_b32 v26, v[vgprValuC+10]                     // store Cr
v_mul_f32 v[vgprValuC+10], s[sgprAlpha], v[vgprValuC+10] // *= alpha ( Cr = Ar * Cr)
_v_mac_f32 v[vgprValuC+10], -s[sgprAlpha+1], v[vgprValuC+11] // *= alpha ( Cr += -Ai * Ci )
v_mul_f32 v[vgprValuC+11], s[sgprAlpha], v[vgprValuC+11] // *= alpha ( Ci = Ar * Ci)
_v_mac_f32 v[vgprValuC+11], s[sgprAlpha+1], v26    // *= alpha ( Ci += Ai * Cr_backup )
v_mov_b32 v26, v[vgprValuC+14]                     // store Cr
v_mul_f32 v[vgprValuC+14], s[sgprAlpha], v[vgprValuC+14] // *= alpha ( Cr = Ar * Cr)
_v_mac_f32 v[vgprValuC+14], -s[sgprAlpha+1], v[vgprValuC+15] // *= alpha ( Cr += -Ai * Ci )
v_mul_f32 v[vgprValuC+15], s[sgprAlpha], v[vgprValuC+15] // *= alpha ( Ci = Ar * Ci)
_v_mac_f32 v[vgprValuC+15], s[sgprAlpha+1], v26    // *= alpha ( Ci += Ai * Cr_backup )
	;; [unrolled: 5-line block ×4, first 2 shown]
s_waitcnt vmcnt(0)                                 // wait C

/* apply mask, calc new C and issue writes */
_v_mac_f32 v[vgprValuC+10], v8, s[sgprBeta]        // finalSum Cr += old Cr * Br
_v_mac_f32 v[vgprValuC+10], v9, -s[sgprBeta+1]     // finalSum Cr += old Ci * -Bi
_v_mac_f32 v[vgprValuC+11], v9, s[sgprBeta]        // finalSum Ci += old Ci * Br
_v_mac_f32 v[vgprValuC+11], v8, s[sgprBeta+1]      // finalSum Ci += old Cr * Bi
_buffer_store_b64 v[10:11], v6, s[sgprSrdD:sgprSrdD+3], 0, offen, offset:0,  nt // store D
_v_mac_f32 v[vgprValuC+14], v12, s[sgprBeta]       // finalSum Cr += old Cr * Br
_v_mac_f32 v[vgprValuC+14], v13, -s[sgprBeta+1]    // finalSum Cr += old Ci * -Bi
_v_mac_f32 v[vgprValuC+15], v13, s[sgprBeta]       // finalSum Ci += old Ci * Br
_v_mac_f32 v[vgprValuC+15], v12, s[sgprBeta+1]     // finalSum Ci += old Cr * Bi
_buffer_store_b64 v[14:15], v7, s[sgprSrdD:sgprSrdD+3], 0, offen, offset:0,  nt // store D
_v_mac_f32 v[vgprValuC+20], v18, s[sgprBeta]       // finalSum Cr += old Cr * Br
_v_mac_f32 v[vgprValuC+20], v19, -s[sgprBeta+1]    // finalSum Cr += old Ci * -Bi
_v_mac_f32 v[vgprValuC+21], v19, s[sgprBeta]       // finalSum Ci += old Ci * Br
_v_mac_f32 v[vgprValuC+21], v18, s[sgprBeta+1]     // finalSum Ci += old Cr * Bi
	;; [unrolled: 5-line block ×3, first 2 shown]
_buffer_store_b64 v[24:25], v17, s[sgprSrdD:sgprSrdD+3], 0, offen, offset:0,  nt // store D
s_nop 0                                            // 1 wait state required when next inst writes vgprs held by previous dwordx4 store inst
/* optSingleColVgpr=0 optSharedColVgpr=0 optSGPRUsage=BufferLoad_Edge_Mask optSrdIncForRow=0 */
s_sleep 3 // optimization: sync and wait
s_barrier

/******************************************/
/* Global Write Alpha Beta Edge Batch #13 (d1,d0,vc1,vc0) = */
/*    (1,7,1,0:vw1); (1,8,1,0:vw1); (1,0,2,0:vw1); (1,1,2,0:vw1) */
/******************************************/

/* calc coords, apply mask, and issue loads (if necessary) */
/* (d1,vc1,d0,vc0)=(1,1,7,0) */
s_mov_b32 s56, 112                                 // coordOffset0 d0=7 vc0=0
_v_add_co_u32 v4, vcc, v0, s56                     // coord0.2: coord0 += d0*sg0*VW + vc0
v_cmp_lt_u32 s[56:57], v4, s[sgprSizeI]            // coord0 < size0
v_cmp_lt_u32 s[60:61], v1, s[sgprSizeJ]            // coord1 < size1
s_and_b64 s[60:61], s[56:57], s[60:61]             // in0 && in1
_v_add_lshl_u32 v6, v2, v4, 0x3                    // scaleToBpe: accumulate d0 lower and *= bpe into Cin addr
v_cndmask_b32 v6, -1, v6, s[60:61]                 // LDC clip if OOB. offset
_buffer_load_b64 v[8:9], v6, s[sgprSrdC:sgprSrdC+3], 0, offen offset:0,  nt // load C for beta calc
_v_add_lshl_u32 v6, v3, v4, 0x3                    // scaleToBpe: accumulate d0 lower and *= bpe into Cin addr
v_cndmask_b32 v6, -1, v6, s[60:61]                 // LDD clip if OOB. offset
/* (d1,vc1,d0,vc0)=(1,1,8,0) */
s_mov_b32 s56, 128                                 // coordOffset0 d0=8 vc0=0
_v_add_co_u32 v4, vcc, v0, s56                     // coord0.2: coord0 += d0*sg0*VW + vc0
v_cmp_lt_u32 s[56:57], v4, s[sgprSizeI]            // coord0 < size0
v_cmp_lt_u32 s[60:61], v1, s[sgprSizeJ]            // coord1 < size1
s_and_b64 s[60:61], s[56:57], s[60:61]             // in0 && in1
_v_add_lshl_u32 v7, v2, v4, 0x3                    // scaleToBpe: accumulate d0 lower and *= bpe into Cin addr
v_cndmask_b32 v7, -1, v7, s[60:61]                 // LDC clip if OOB. offset
_buffer_load_b64 v[12:13], v7, s[sgprSrdC:sgprSrdC+3], 0, offen offset:0,  nt // load C for beta calc
_v_add_lshl_u32 v7, v3, v4, 0x3                    // scaleToBpe: accumulate d0 lower and *= bpe into Cin addr
v_cndmask_b32 v7, -1, v7, s[60:61]                 // LDD clip if OOB. offset
/* (d1,vc1,d0,vc0)=(1,2,0,0) */
_v_add_co_u32 v1, vcc, v1, 1                       // coord1.1: coord1Vgpr += d1*sg1*VW + vc1

/* Fix for UseInitialStridesCD, emitAddressSetupCode */
_v_add_u32 v2, v2, s[sgprStrideC1J]                // ROWINC- Move cinRowPtr to next row
_v_add_u32 v3, v3, s[sgprStrideD1J]                // Move coutRowPtr to next row
v_cmp_lt_u32 s[56:57], v0, s[sgprSizeI]            // coord0 < size0
v_cmp_lt_u32 s[60:61], v1, s[sgprSizeJ]            // coord1 < size1
s_and_b64 s[60:61], s[56:57], s[60:61]             // in0 && in1
_v_add_lshl_u32 v16, v2, v0, 0x3                   // scaleToBpe: accumulate d0 lower and *= bpe into Cin addr
v_cndmask_b32 v16, -1, v16, s[60:61]               // LDC clip if OOB. offset
_buffer_load_b64 v[18:19], v16, s[sgprSrdC:sgprSrdC+3], 0, offen offset:0,  nt // load C for beta calc
_v_add_lshl_u32 v16, v3, v0, 0x3                   // scaleToBpe: accumulate d0 lower and *= bpe into Cin addr
v_cndmask_b32 v16, -1, v16, s[60:61]               // LDD clip if OOB. offset
/* (d1,vc1,d0,vc0)=(1,2,1,0) */
_v_add_co_u32 v4, vcc, v0, 16                      // coord0.1: coord0 += d0*sg0*VW + vc0
v_cmp_lt_u32 s[56:57], v4, s[sgprSizeI]            // coord0 < size0
v_cmp_lt_u32 s[60:61], v1, s[sgprSizeJ]            // coord1 < size1
s_and_b64 s[60:61], s[56:57], s[60:61]             // in0 && in1
_v_add_lshl_u32 v17, v2, v4, 0x3                   // scaleToBpe: accumulate d0 lower and *= bpe into Cin addr
v_cndmask_b32 v17, -1, v17, s[60:61]               // LDC clip if OOB. offset
_buffer_load_b64 v[22:23], v17, s[sgprSrdC:sgprSrdC+3], 0, offen offset:0,  nt // load C for beta calc
_v_add_lshl_u32 v17, v3, v4, 0x3                   // scaleToBpe: accumulate d0 lower and *= bpe into Cin addr
v_cndmask_b32 v17, -1, v17, s[60:61]               // LDD clip if OOB. offset
s_sleep 3 // optimization: sync and wait
s_barrier
v_accvgpr_read_b32 v[vgprValuC+10], acc65 // copy acc to vreg[104]
v_accvgpr_read_b32 v[vgprValuC+11], acc137 // copy acc to vreg[105]
v_accvgpr_read_b32 v[vgprValuC+14], acc69 // copy acc to vreg[106]
v_accvgpr_read_b32 v[vgprValuC+15], acc141 // copy acc to vreg[107]
v_accvgpr_read_b32 v[vgprValuC+20], acc38 // copy acc to vreg[108]
v_accvgpr_read_b32 v[vgprValuC+21], acc110 // copy acc to vreg[109]
v_accvgpr_read_b32 v[vgprValuC+24], acc42 // copy acc to vreg[110]
v_accvgpr_read_b32 v[vgprValuC+25], acc114 // copy acc to vreg[111]
s_nop 1                                            // 2 wait states required before reading vgpr

/* rC *= alpha batchElements=[(1, 7, 1, 0), (1, 8, 1, 0), (1, 0, 2, 0), (1, 1, 2, 0)] */
v_mov_b32 v26, v[vgprValuC+10]                     // store Cr
v_mul_f32 v[vgprValuC+10], s[sgprAlpha], v[vgprValuC+10] // *= alpha ( Cr = Ar * Cr)
_v_mac_f32 v[vgprValuC+10], -s[sgprAlpha+1], v[vgprValuC+11] // *= alpha ( Cr += -Ai * Ci )
v_mul_f32 v[vgprValuC+11], s[sgprAlpha], v[vgprValuC+11] // *= alpha ( Ci = Ar * Ci)
_v_mac_f32 v[vgprValuC+11], s[sgprAlpha+1], v26    // *= alpha ( Ci += Ai * Cr_backup )
v_mov_b32 v26, v[vgprValuC+14]                     // store Cr
v_mul_f32 v[vgprValuC+14], s[sgprAlpha], v[vgprValuC+14] // *= alpha ( Cr = Ar * Cr)
_v_mac_f32 v[vgprValuC+14], -s[sgprAlpha+1], v[vgprValuC+15] // *= alpha ( Cr += -Ai * Ci )
v_mul_f32 v[vgprValuC+15], s[sgprAlpha], v[vgprValuC+15] // *= alpha ( Ci = Ar * Ci)
_v_mac_f32 v[vgprValuC+15], s[sgprAlpha+1], v26    // *= alpha ( Ci += Ai * Cr_backup )
	;; [unrolled: 5-line block ×4, first 2 shown]
s_waitcnt vmcnt(0)                                 // wait C

/* apply mask, calc new C and issue writes */
_v_mac_f32 v[vgprValuC+10], v8, s[sgprBeta]        // finalSum Cr += old Cr * Br
_v_mac_f32 v[vgprValuC+10], v9, -s[sgprBeta+1]     // finalSum Cr += old Ci * -Bi
_v_mac_f32 v[vgprValuC+11], v9, s[sgprBeta]        // finalSum Ci += old Ci * Br
_v_mac_f32 v[vgprValuC+11], v8, s[sgprBeta+1]      // finalSum Ci += old Cr * Bi
_buffer_store_b64 v[10:11], v6, s[sgprSrdD:sgprSrdD+3], 0, offen, offset:0,  nt // store D
_v_mac_f32 v[vgprValuC+14], v12, s[sgprBeta]       // finalSum Cr += old Cr * Br
_v_mac_f32 v[vgprValuC+14], v13, -s[sgprBeta+1]    // finalSum Cr += old Ci * -Bi
_v_mac_f32 v[vgprValuC+15], v13, s[sgprBeta]       // finalSum Ci += old Ci * Br
_v_mac_f32 v[vgprValuC+15], v12, s[sgprBeta+1]     // finalSum Ci += old Cr * Bi
_buffer_store_b64 v[14:15], v7, s[sgprSrdD:sgprSrdD+3], 0, offen, offset:0,  nt // store D
_v_mac_f32 v[vgprValuC+20], v18, s[sgprBeta]       // finalSum Cr += old Cr * Br
_v_mac_f32 v[vgprValuC+20], v19, -s[sgprBeta+1]    // finalSum Cr += old Ci * -Bi
_v_mac_f32 v[vgprValuC+21], v19, s[sgprBeta]       // finalSum Ci += old Ci * Br
_v_mac_f32 v[vgprValuC+21], v18, s[sgprBeta+1]     // finalSum Ci += old Cr * Bi
	;; [unrolled: 5-line block ×3, first 2 shown]
_buffer_store_b64 v[24:25], v17, s[sgprSrdD:sgprSrdD+3], 0, offen, offset:0,  nt // store D
s_nop 0                                            // 1 wait state required when next inst writes vgprs held by previous dwordx4 store inst
/* optSingleColVgpr=0 optSharedColVgpr=0 optSGPRUsage=BufferLoad_Edge_Mask optSrdIncForRow=0 */
s_sleep 3 // optimization: sync and wait
s_barrier

/******************************************/
/* Global Write Alpha Beta Edge Batch #14 (d1,d0,vc1,vc0) = */
/*    (1,2,2,0:vw1); (1,3,2,0:vw1); (1,4,2,0:vw1); (1,5,2,0:vw1) */
/******************************************/

/* calc coords, apply mask, and issue loads (if necessary) */
/* (d1,vc1,d0,vc0)=(1,2,2,0) */
_v_add_co_u32 v4, vcc, v0, 32                      // coord0.1: coord0 += d0*sg0*VW + vc0
v_cmp_lt_u32 s[56:57], v4, s[sgprSizeI]            // coord0 < size0
v_cmp_lt_u32 s[60:61], v1, s[sgprSizeJ]            // coord1 < size1
s_and_b64 s[60:61], s[56:57], s[60:61]             // in0 && in1
_v_add_lshl_u32 v6, v2, v4, 0x3                    // scaleToBpe: accumulate d0 lower and *= bpe into Cin addr
v_cndmask_b32 v6, -1, v6, s[60:61]                 // LDC clip if OOB. offset
_buffer_load_b64 v[8:9], v6, s[sgprSrdC:sgprSrdC+3], 0, offen offset:0,  nt // load C for beta calc
_v_add_lshl_u32 v6, v3, v4, 0x3                    // scaleToBpe: accumulate d0 lower and *= bpe into Cin addr
v_cndmask_b32 v6, -1, v6, s[60:61]                 // LDD clip if OOB. offset
/* (d1,vc1,d0,vc0)=(1,2,3,0) */
_v_add_co_u32 v4, vcc, v0, 48                      // coord0.1: coord0 += d0*sg0*VW + vc0
v_cmp_lt_u32 s[56:57], v4, s[sgprSizeI]            // coord0 < size0
v_cmp_lt_u32 s[60:61], v1, s[sgprSizeJ]            // coord1 < size1
s_and_b64 s[60:61], s[56:57], s[60:61]             // in0 && in1
_v_add_lshl_u32 v7, v2, v4, 0x3                    // scaleToBpe: accumulate d0 lower and *= bpe into Cin addr
v_cndmask_b32 v7, -1, v7, s[60:61]                 // LDC clip if OOB. offset
_buffer_load_b64 v[12:13], v7, s[sgprSrdC:sgprSrdC+3], 0, offen offset:0,  nt // load C for beta calc
_v_add_lshl_u32 v7, v3, v4, 0x3                    // scaleToBpe: accumulate d0 lower and *= bpe into Cin addr
v_cndmask_b32 v7, -1, v7, s[60:61]                 // LDD clip if OOB. offset
/* (d1,vc1,d0,vc0)=(1,2,4,0) */
_v_add_co_u32 v4, vcc, v0, 64                      // coord0.1: coord0 += d0*sg0*VW + vc0
v_cmp_lt_u32 s[56:57], v4, s[sgprSizeI]            // coord0 < size0
v_cmp_lt_u32 s[60:61], v1, s[sgprSizeJ]            // coord1 < size1
s_and_b64 s[60:61], s[56:57], s[60:61]             // in0 && in1
_v_add_lshl_u32 v16, v2, v4, 0x3                   // scaleToBpe: accumulate d0 lower and *= bpe into Cin addr
v_cndmask_b32 v16, -1, v16, s[60:61]               // LDC clip if OOB. offset
_buffer_load_b64 v[18:19], v16, s[sgprSrdC:sgprSrdC+3], 0, offen offset:0,  nt // load C for beta calc
_v_add_lshl_u32 v16, v3, v4, 0x3                   // scaleToBpe: accumulate d0 lower and *= bpe into Cin addr
v_cndmask_b32 v16, -1, v16, s[60:61]               // LDD clip if OOB. offset
/* (d1,vc1,d0,vc0)=(1,2,5,0) */
s_mov_b32 s56, 80                                  // coordOffset0 d0=5 vc0=0
_v_add_co_u32 v4, vcc, v0, s56                     // coord0.2: coord0 += d0*sg0*VW + vc0
v_cmp_lt_u32 s[56:57], v4, s[sgprSizeI]            // coord0 < size0
v_cmp_lt_u32 s[60:61], v1, s[sgprSizeJ]            // coord1 < size1
s_and_b64 s[60:61], s[56:57], s[60:61]             // in0 && in1
_v_add_lshl_u32 v17, v2, v4, 0x3                   // scaleToBpe: accumulate d0 lower and *= bpe into Cin addr
v_cndmask_b32 v17, -1, v17, s[60:61]               // LDC clip if OOB. offset
_buffer_load_b64 v[22:23], v17, s[sgprSrdC:sgprSrdC+3], 0, offen offset:0,  nt // load C for beta calc
_v_add_lshl_u32 v17, v3, v4, 0x3                   // scaleToBpe: accumulate d0 lower and *= bpe into Cin addr
v_cndmask_b32 v17, -1, v17, s[60:61]               // LDD clip if OOB. offset
s_sleep 3 // optimization: sync and wait
s_barrier
v_accvgpr_read_b32 v[vgprValuC+10], acc46 // copy acc to vreg[112]
v_accvgpr_read_b32 v[vgprValuC+11], acc118 // copy acc to vreg[113]
v_accvgpr_read_b32 v[vgprValuC+14], acc50 // copy acc to vreg[114]
v_accvgpr_read_b32 v[vgprValuC+15], acc122 // copy acc to vreg[115]
v_accvgpr_read_b32 v[vgprValuC+20], acc54 // copy acc to vreg[116]
v_accvgpr_read_b32 v[vgprValuC+21], acc126 // copy acc to vreg[117]
v_accvgpr_read_b32 v[vgprValuC+24], acc58 // copy acc to vreg[118]
v_accvgpr_read_b32 v[vgprValuC+25], acc130 // copy acc to vreg[119]
s_nop 1                                            // 2 wait states required before reading vgpr

/* rC *= alpha batchElements=[(1, 2, 2, 0), (1, 3, 2, 0), (1, 4, 2, 0), (1, 5, 2, 0)] */
v_mov_b32 v26, v[vgprValuC+10]                     // store Cr
v_mul_f32 v[vgprValuC+10], s[sgprAlpha], v[vgprValuC+10] // *= alpha ( Cr = Ar * Cr)
_v_mac_f32 v[vgprValuC+10], -s[sgprAlpha+1], v[vgprValuC+11] // *= alpha ( Cr += -Ai * Ci )
v_mul_f32 v[vgprValuC+11], s[sgprAlpha], v[vgprValuC+11] // *= alpha ( Ci = Ar * Ci)
_v_mac_f32 v[vgprValuC+11], s[sgprAlpha+1], v26    // *= alpha ( Ci += Ai * Cr_backup )
v_mov_b32 v26, v[vgprValuC+14]                     // store Cr
v_mul_f32 v[vgprValuC+14], s[sgprAlpha], v[vgprValuC+14] // *= alpha ( Cr = Ar * Cr)
_v_mac_f32 v[vgprValuC+14], -s[sgprAlpha+1], v[vgprValuC+15] // *= alpha ( Cr += -Ai * Ci )
v_mul_f32 v[vgprValuC+15], s[sgprAlpha], v[vgprValuC+15] // *= alpha ( Ci = Ar * Ci)
_v_mac_f32 v[vgprValuC+15], s[sgprAlpha+1], v26    // *= alpha ( Ci += Ai * Cr_backup )
	;; [unrolled: 5-line block ×4, first 2 shown]
s_waitcnt vmcnt(0)                                 // wait C

/* apply mask, calc new C and issue writes */
_v_mac_f32 v[vgprValuC+10], v8, s[sgprBeta]        // finalSum Cr += old Cr * Br
_v_mac_f32 v[vgprValuC+10], v9, -s[sgprBeta+1]     // finalSum Cr += old Ci * -Bi
_v_mac_f32 v[vgprValuC+11], v9, s[sgprBeta]        // finalSum Ci += old Ci * Br
_v_mac_f32 v[vgprValuC+11], v8, s[sgprBeta+1]      // finalSum Ci += old Cr * Bi
_buffer_store_b64 v[10:11], v6, s[sgprSrdD:sgprSrdD+3], 0, offen, offset:0,  nt // store D
_v_mac_f32 v[vgprValuC+14], v12, s[sgprBeta]       // finalSum Cr += old Cr * Br
_v_mac_f32 v[vgprValuC+14], v13, -s[sgprBeta+1]    // finalSum Cr += old Ci * -Bi
_v_mac_f32 v[vgprValuC+15], v13, s[sgprBeta]       // finalSum Ci += old Ci * Br
_v_mac_f32 v[vgprValuC+15], v12, s[sgprBeta+1]     // finalSum Ci += old Cr * Bi
_buffer_store_b64 v[14:15], v7, s[sgprSrdD:sgprSrdD+3], 0, offen, offset:0,  nt // store D
_v_mac_f32 v[vgprValuC+20], v18, s[sgprBeta]       // finalSum Cr += old Cr * Br
_v_mac_f32 v[vgprValuC+20], v19, -s[sgprBeta+1]    // finalSum Cr += old Ci * -Bi
_v_mac_f32 v[vgprValuC+21], v19, s[sgprBeta]       // finalSum Ci += old Ci * Br
_v_mac_f32 v[vgprValuC+21], v18, s[sgprBeta+1]     // finalSum Ci += old Cr * Bi
	;; [unrolled: 5-line block ×3, first 2 shown]
_buffer_store_b64 v[24:25], v17, s[sgprSrdD:sgprSrdD+3], 0, offen, offset:0,  nt // store D
s_nop 0                                            // 1 wait state required when next inst writes vgprs held by previous dwordx4 store inst
/* optSingleColVgpr=0 optSharedColVgpr=0 optSGPRUsage=BufferLoad_Edge_Mask optSrdIncForRow=0 */
s_sleep 3 // optimization: sync and wait
s_barrier

/******************************************/
/* Global Write Alpha Beta Edge Batch #15 (d1,d0,vc1,vc0) = */
/*    (1,6,2,0:vw1); (1,7,2,0:vw1); (1,8,2,0:vw1); (1,0,3,0:vw1) */
/******************************************/

/* calc coords, apply mask, and issue loads (if necessary) */
/* (d1,vc1,d0,vc0)=(1,2,6,0) */
s_mov_b32 s56, 96                                  // coordOffset0 d0=6 vc0=0
_v_add_co_u32 v4, vcc, v0, s56                     // coord0.2: coord0 += d0*sg0*VW + vc0
v_cmp_lt_u32 s[56:57], v4, s[sgprSizeI]            // coord0 < size0
v_cmp_lt_u32 s[60:61], v1, s[sgprSizeJ]            // coord1 < size1
s_and_b64 s[60:61], s[56:57], s[60:61]             // in0 && in1
_v_add_lshl_u32 v6, v2, v4, 0x3                    // scaleToBpe: accumulate d0 lower and *= bpe into Cin addr
v_cndmask_b32 v6, -1, v6, s[60:61]                 // LDC clip if OOB. offset
_buffer_load_b64 v[8:9], v6, s[sgprSrdC:sgprSrdC+3], 0, offen offset:0,  nt // load C for beta calc
_v_add_lshl_u32 v6, v3, v4, 0x3                    // scaleToBpe: accumulate d0 lower and *= bpe into Cin addr
v_cndmask_b32 v6, -1, v6, s[60:61]                 // LDD clip if OOB. offset
/* (d1,vc1,d0,vc0)=(1,2,7,0) */
s_mov_b32 s56, 112                                 // coordOffset0 d0=7 vc0=0
_v_add_co_u32 v4, vcc, v0, s56                     // coord0.2: coord0 += d0*sg0*VW + vc0
v_cmp_lt_u32 s[56:57], v4, s[sgprSizeI]            // coord0 < size0
v_cmp_lt_u32 s[60:61], v1, s[sgprSizeJ]            // coord1 < size1
s_and_b64 s[60:61], s[56:57], s[60:61]             // in0 && in1
_v_add_lshl_u32 v7, v2, v4, 0x3                    // scaleToBpe: accumulate d0 lower and *= bpe into Cin addr
v_cndmask_b32 v7, -1, v7, s[60:61]                 // LDC clip if OOB. offset
_buffer_load_b64 v[12:13], v7, s[sgprSrdC:sgprSrdC+3], 0, offen offset:0,  nt // load C for beta calc
_v_add_lshl_u32 v7, v3, v4, 0x3                    // scaleToBpe: accumulate d0 lower and *= bpe into Cin addr
v_cndmask_b32 v7, -1, v7, s[60:61]                 // LDD clip if OOB. offset
/* (d1,vc1,d0,vc0)=(1,2,8,0) */
s_mov_b32 s56, 128                                 // coordOffset0 d0=8 vc0=0
_v_add_co_u32 v4, vcc, v0, s56                     // coord0.2: coord0 += d0*sg0*VW + vc0
v_cmp_lt_u32 s[56:57], v4, s[sgprSizeI]            // coord0 < size0
v_cmp_lt_u32 s[60:61], v1, s[sgprSizeJ]            // coord1 < size1
s_and_b64 s[60:61], s[56:57], s[60:61]             // in0 && in1
_v_add_lshl_u32 v16, v2, v4, 0x3                   // scaleToBpe: accumulate d0 lower and *= bpe into Cin addr
v_cndmask_b32 v16, -1, v16, s[60:61]               // LDC clip if OOB. offset
_buffer_load_b64 v[18:19], v16, s[sgprSrdC:sgprSrdC+3], 0, offen offset:0,  nt // load C for beta calc
_v_add_lshl_u32 v16, v3, v4, 0x3                   // scaleToBpe: accumulate d0 lower and *= bpe into Cin addr
v_cndmask_b32 v16, -1, v16, s[60:61]               // LDD clip if OOB. offset
/* (d1,vc1,d0,vc0)=(1,3,0,0) */
_v_add_co_u32 v1, vcc, v1, 1                       // coord1.1: coord1Vgpr += d1*sg1*VW + vc1

/* Fix for UseInitialStridesCD, emitAddressSetupCode */
_v_add_u32 v2, v2, s[sgprStrideC1J]                // ROWINC- Move cinRowPtr to next row
_v_add_u32 v3, v3, s[sgprStrideD1J]                // Move coutRowPtr to next row
v_cmp_lt_u32 s[56:57], v0, s[sgprSizeI]            // coord0 < size0
v_cmp_lt_u32 s[60:61], v1, s[sgprSizeJ]            // coord1 < size1
s_and_b64 s[60:61], s[56:57], s[60:61]             // in0 && in1
_v_add_lshl_u32 v17, v2, v0, 0x3                   // scaleToBpe: accumulate d0 lower and *= bpe into Cin addr
v_cndmask_b32 v17, -1, v17, s[60:61]               // LDC clip if OOB. offset
_buffer_load_b64 v[22:23], v17, s[sgprSrdC:sgprSrdC+3], 0, offen offset:0,  nt // load C for beta calc
_v_add_lshl_u32 v17, v3, v0, 0x3                   // scaleToBpe: accumulate d0 lower and *= bpe into Cin addr
v_cndmask_b32 v17, -1, v17, s[60:61]               // LDD clip if OOB. offset
s_sleep 3 // optimization: sync and wait
s_barrier
v_accvgpr_read_b32 v[vgprValuC+10], acc62 // copy acc to vreg[120]
v_accvgpr_read_b32 v[vgprValuC+11], acc134 // copy acc to vreg[121]
v_accvgpr_read_b32 v[vgprValuC+14], acc66 // copy acc to vreg[122]
v_accvgpr_read_b32 v[vgprValuC+15], acc138 // copy acc to vreg[123]
v_accvgpr_read_b32 v[vgprValuC+20], acc70 // copy acc to vreg[124]
v_accvgpr_read_b32 v[vgprValuC+21], acc142 // copy acc to vreg[125]
v_accvgpr_read_b32 v[vgprValuC+24], acc39 // copy acc to vreg[126]
v_accvgpr_read_b32 v[vgprValuC+25], acc111 // copy acc to vreg[127]
s_nop 1                                            // 2 wait states required before reading vgpr

/* rC *= alpha batchElements=[(1, 6, 2, 0), (1, 7, 2, 0), (1, 8, 2, 0), (1, 0, 3, 0)] */
v_mov_b32 v26, v[vgprValuC+10]                     // store Cr
v_mul_f32 v[vgprValuC+10], s[sgprAlpha], v[vgprValuC+10] // *= alpha ( Cr = Ar * Cr)
_v_mac_f32 v[vgprValuC+10], -s[sgprAlpha+1], v[vgprValuC+11] // *= alpha ( Cr += -Ai * Ci )
v_mul_f32 v[vgprValuC+11], s[sgprAlpha], v[vgprValuC+11] // *= alpha ( Ci = Ar * Ci)
_v_mac_f32 v[vgprValuC+11], s[sgprAlpha+1], v26    // *= alpha ( Ci += Ai * Cr_backup )
v_mov_b32 v26, v[vgprValuC+14]                     // store Cr
v_mul_f32 v[vgprValuC+14], s[sgprAlpha], v[vgprValuC+14] // *= alpha ( Cr = Ar * Cr)
_v_mac_f32 v[vgprValuC+14], -s[sgprAlpha+1], v[vgprValuC+15] // *= alpha ( Cr += -Ai * Ci )
v_mul_f32 v[vgprValuC+15], s[sgprAlpha], v[vgprValuC+15] // *= alpha ( Ci = Ar * Ci)
_v_mac_f32 v[vgprValuC+15], s[sgprAlpha+1], v26    // *= alpha ( Ci += Ai * Cr_backup )
	;; [unrolled: 5-line block ×4, first 2 shown]
s_waitcnt vmcnt(0)                                 // wait C

/* apply mask, calc new C and issue writes */
_v_mac_f32 v[vgprValuC+10], v8, s[sgprBeta]        // finalSum Cr += old Cr * Br
_v_mac_f32 v[vgprValuC+10], v9, -s[sgprBeta+1]     // finalSum Cr += old Ci * -Bi
_v_mac_f32 v[vgprValuC+11], v9, s[sgprBeta]        // finalSum Ci += old Ci * Br
_v_mac_f32 v[vgprValuC+11], v8, s[sgprBeta+1]      // finalSum Ci += old Cr * Bi
_buffer_store_b64 v[10:11], v6, s[sgprSrdD:sgprSrdD+3], 0, offen, offset:0,  nt // store D
_v_mac_f32 v[vgprValuC+14], v12, s[sgprBeta]       // finalSum Cr += old Cr * Br
_v_mac_f32 v[vgprValuC+14], v13, -s[sgprBeta+1]    // finalSum Cr += old Ci * -Bi
_v_mac_f32 v[vgprValuC+15], v13, s[sgprBeta]       // finalSum Ci += old Ci * Br
_v_mac_f32 v[vgprValuC+15], v12, s[sgprBeta+1]     // finalSum Ci += old Cr * Bi
_buffer_store_b64 v[14:15], v7, s[sgprSrdD:sgprSrdD+3], 0, offen, offset:0,  nt // store D
_v_mac_f32 v[vgprValuC+20], v18, s[sgprBeta]       // finalSum Cr += old Cr * Br
_v_mac_f32 v[vgprValuC+20], v19, -s[sgprBeta+1]    // finalSum Cr += old Ci * -Bi
_v_mac_f32 v[vgprValuC+21], v19, s[sgprBeta]       // finalSum Ci += old Ci * Br
_v_mac_f32 v[vgprValuC+21], v18, s[sgprBeta+1]     // finalSum Ci += old Cr * Bi
	;; [unrolled: 5-line block ×3, first 2 shown]
_buffer_store_b64 v[24:25], v17, s[sgprSrdD:sgprSrdD+3], 0, offen, offset:0,  nt // store D
s_nop 0                                            // 1 wait state required when next inst writes vgprs held by previous dwordx4 store inst
/* optSingleColVgpr=0 optSharedColVgpr=0 optSGPRUsage=BufferLoad_Edge_Mask optSrdIncForRow=0 */
s_sleep 3 // optimization: sync and wait
s_barrier

/******************************************/
/* Global Write Alpha Beta Edge Batch #16 (d1,d0,vc1,vc0) = */
/*    (1,1,3,0:vw1); (1,2,3,0:vw1); (1,3,3,0:vw1); (1,4,3,0:vw1) */
/******************************************/

/* calc coords, apply mask, and issue loads (if necessary) */
/* (d1,vc1,d0,vc0)=(1,3,1,0) */
_v_add_co_u32 v4, vcc, v0, 16                      // coord0.1: coord0 += d0*sg0*VW + vc0
v_cmp_lt_u32 s[56:57], v4, s[sgprSizeI]            // coord0 < size0
v_cmp_lt_u32 s[60:61], v1, s[sgprSizeJ]            // coord1 < size1
s_and_b64 s[60:61], s[56:57], s[60:61]             // in0 && in1
_v_add_lshl_u32 v6, v2, v4, 0x3                    // scaleToBpe: accumulate d0 lower and *= bpe into Cin addr
v_cndmask_b32 v6, -1, v6, s[60:61]                 // LDC clip if OOB. offset
_buffer_load_b64 v[8:9], v6, s[sgprSrdC:sgprSrdC+3], 0, offen offset:0,  nt // load C for beta calc
_v_add_lshl_u32 v6, v3, v4, 0x3                    // scaleToBpe: accumulate d0 lower and *= bpe into Cin addr
v_cndmask_b32 v6, -1, v6, s[60:61]                 // LDD clip if OOB. offset
/* (d1,vc1,d0,vc0)=(1,3,2,0) */
_v_add_co_u32 v4, vcc, v0, 32                      // coord0.1: coord0 += d0*sg0*VW + vc0
v_cmp_lt_u32 s[56:57], v4, s[sgprSizeI]            // coord0 < size0
v_cmp_lt_u32 s[60:61], v1, s[sgprSizeJ]            // coord1 < size1
s_and_b64 s[60:61], s[56:57], s[60:61]             // in0 && in1
_v_add_lshl_u32 v7, v2, v4, 0x3                    // scaleToBpe: accumulate d0 lower and *= bpe into Cin addr
v_cndmask_b32 v7, -1, v7, s[60:61]                 // LDC clip if OOB. offset
_buffer_load_b64 v[12:13], v7, s[sgprSrdC:sgprSrdC+3], 0, offen offset:0,  nt // load C for beta calc
_v_add_lshl_u32 v7, v3, v4, 0x3                    // scaleToBpe: accumulate d0 lower and *= bpe into Cin addr
v_cndmask_b32 v7, -1, v7, s[60:61]                 // LDD clip if OOB. offset
/* (d1,vc1,d0,vc0)=(1,3,3,0) */
_v_add_co_u32 v4, vcc, v0, 48                      // coord0.1: coord0 += d0*sg0*VW + vc0
v_cmp_lt_u32 s[56:57], v4, s[sgprSizeI]            // coord0 < size0
v_cmp_lt_u32 s[60:61], v1, s[sgprSizeJ]            // coord1 < size1
s_and_b64 s[60:61], s[56:57], s[60:61]             // in0 && in1
_v_add_lshl_u32 v16, v2, v4, 0x3                   // scaleToBpe: accumulate d0 lower and *= bpe into Cin addr
v_cndmask_b32 v16, -1, v16, s[60:61]               // LDC clip if OOB. offset
_buffer_load_b64 v[18:19], v16, s[sgprSrdC:sgprSrdC+3], 0, offen offset:0,  nt // load C for beta calc
_v_add_lshl_u32 v16, v3, v4, 0x3                   // scaleToBpe: accumulate d0 lower and *= bpe into Cin addr
v_cndmask_b32 v16, -1, v16, s[60:61]               // LDD clip if OOB. offset
/* (d1,vc1,d0,vc0)=(1,3,4,0) */
_v_add_co_u32 v4, vcc, v0, 64                      // coord0.1: coord0 += d0*sg0*VW + vc0
v_cmp_lt_u32 s[56:57], v4, s[sgprSizeI]            // coord0 < size0
v_cmp_lt_u32 s[60:61], v1, s[sgprSizeJ]            // coord1 < size1
s_and_b64 s[60:61], s[56:57], s[60:61]             // in0 && in1
_v_add_lshl_u32 v17, v2, v4, 0x3                   // scaleToBpe: accumulate d0 lower and *= bpe into Cin addr
v_cndmask_b32 v17, -1, v17, s[60:61]               // LDC clip if OOB. offset
_buffer_load_b64 v[22:23], v17, s[sgprSrdC:sgprSrdC+3], 0, offen offset:0,  nt // load C for beta calc
_v_add_lshl_u32 v17, v3, v4, 0x3                   // scaleToBpe: accumulate d0 lower and *= bpe into Cin addr
v_cndmask_b32 v17, -1, v17, s[60:61]               // LDD clip if OOB. offset
s_sleep 3 // optimization: sync and wait
s_barrier
v_accvgpr_read_b32 v[vgprValuC+10], acc43 // copy acc to vreg[128]
v_accvgpr_read_b32 v[vgprValuC+11], acc115 // copy acc to vreg[129]
v_accvgpr_read_b32 v[vgprValuC+14], acc47 // copy acc to vreg[130]
v_accvgpr_read_b32 v[vgprValuC+15], acc119 // copy acc to vreg[131]
v_accvgpr_read_b32 v[vgprValuC+20], acc51 // copy acc to vreg[132]
v_accvgpr_read_b32 v[vgprValuC+21], acc123 // copy acc to vreg[133]
v_accvgpr_read_b32 v[vgprValuC+24], acc55 // copy acc to vreg[134]
v_accvgpr_read_b32 v[vgprValuC+25], acc127 // copy acc to vreg[135]
s_nop 1                                            // 2 wait states required before reading vgpr

/* rC *= alpha batchElements=[(1, 1, 3, 0), (1, 2, 3, 0), (1, 3, 3, 0), (1, 4, 3, 0)] */
v_mov_b32 v26, v[vgprValuC+10]                     // store Cr
v_mul_f32 v[vgprValuC+10], s[sgprAlpha], v[vgprValuC+10] // *= alpha ( Cr = Ar * Cr)
_v_mac_f32 v[vgprValuC+10], -s[sgprAlpha+1], v[vgprValuC+11] // *= alpha ( Cr += -Ai * Ci )
v_mul_f32 v[vgprValuC+11], s[sgprAlpha], v[vgprValuC+11] // *= alpha ( Ci = Ar * Ci)
_v_mac_f32 v[vgprValuC+11], s[sgprAlpha+1], v26    // *= alpha ( Ci += Ai * Cr_backup )
v_mov_b32 v26, v[vgprValuC+14]                     // store Cr
v_mul_f32 v[vgprValuC+14], s[sgprAlpha], v[vgprValuC+14] // *= alpha ( Cr = Ar * Cr)
_v_mac_f32 v[vgprValuC+14], -s[sgprAlpha+1], v[vgprValuC+15] // *= alpha ( Cr += -Ai * Ci )
v_mul_f32 v[vgprValuC+15], s[sgprAlpha], v[vgprValuC+15] // *= alpha ( Ci = Ar * Ci)
_v_mac_f32 v[vgprValuC+15], s[sgprAlpha+1], v26    // *= alpha ( Ci += Ai * Cr_backup )
	;; [unrolled: 5-line block ×4, first 2 shown]
s_waitcnt vmcnt(0)                                 // wait C

/* apply mask, calc new C and issue writes */
_v_mac_f32 v[vgprValuC+10], v8, s[sgprBeta]        // finalSum Cr += old Cr * Br
_v_mac_f32 v[vgprValuC+10], v9, -s[sgprBeta+1]     // finalSum Cr += old Ci * -Bi
_v_mac_f32 v[vgprValuC+11], v9, s[sgprBeta]        // finalSum Ci += old Ci * Br
_v_mac_f32 v[vgprValuC+11], v8, s[sgprBeta+1]      // finalSum Ci += old Cr * Bi
_buffer_store_b64 v[10:11], v6, s[sgprSrdD:sgprSrdD+3], 0, offen, offset:0,  nt // store D
_v_mac_f32 v[vgprValuC+14], v12, s[sgprBeta]       // finalSum Cr += old Cr * Br
_v_mac_f32 v[vgprValuC+14], v13, -s[sgprBeta+1]    // finalSum Cr += old Ci * -Bi
_v_mac_f32 v[vgprValuC+15], v13, s[sgprBeta]       // finalSum Ci += old Ci * Br
_v_mac_f32 v[vgprValuC+15], v12, s[sgprBeta+1]     // finalSum Ci += old Cr * Bi
_buffer_store_b64 v[14:15], v7, s[sgprSrdD:sgprSrdD+3], 0, offen, offset:0,  nt // store D
_v_mac_f32 v[vgprValuC+20], v18, s[sgprBeta]       // finalSum Cr += old Cr * Br
_v_mac_f32 v[vgprValuC+20], v19, -s[sgprBeta+1]    // finalSum Cr += old Ci * -Bi
_v_mac_f32 v[vgprValuC+21], v19, s[sgprBeta]       // finalSum Ci += old Ci * Br
_v_mac_f32 v[vgprValuC+21], v18, s[sgprBeta+1]     // finalSum Ci += old Cr * Bi
	;; [unrolled: 5-line block ×3, first 2 shown]
_buffer_store_b64 v[24:25], v17, s[sgprSrdD:sgprSrdD+3], 0, offen, offset:0,  nt // store D
s_nop 0                                            // 1 wait state required when next inst writes vgprs held by previous dwordx4 store inst
/* optSingleColVgpr=0 optSharedColVgpr=0 optSGPRUsage=BufferLoad_Edge_Mask optSrdIncForRow=0 */
s_sleep 3 // optimization: sync and wait
s_barrier

/******************************************/
/* Global Write Alpha Beta Edge Batch #17 (d1,d0,vc1,vc0) = */
/*    (1,5,3,0:vw1); (1,6,3,0:vw1); (1,7,3,0:vw1); (1,8,3,0:vw1) */
/******************************************/

/* calc coords, apply mask, and issue loads (if necessary) */
/* (d1,vc1,d0,vc0)=(1,3,5,0) */
s_mov_b32 s56, 80                                  // coordOffset0 d0=5 vc0=0
_v_add_co_u32 v4, vcc, v0, s56                     // coord0.2: coord0 += d0*sg0*VW + vc0
v_cmp_lt_u32 s[56:57], v4, s[sgprSizeI]            // coord0 < size0
v_cmp_lt_u32 s[60:61], v1, s[sgprSizeJ]            // coord1 < size1
s_and_b64 s[60:61], s[56:57], s[60:61]             // in0 && in1
_v_add_lshl_u32 v6, v2, v4, 0x3                    // scaleToBpe: accumulate d0 lower and *= bpe into Cin addr
v_cndmask_b32 v6, -1, v6, s[60:61]                 // LDC clip if OOB. offset
_buffer_load_b64 v[8:9], v6, s[sgprSrdC:sgprSrdC+3], 0, offen offset:0,  nt // load C for beta calc
_v_add_lshl_u32 v6, v3, v4, 0x3                    // scaleToBpe: accumulate d0 lower and *= bpe into Cin addr
v_cndmask_b32 v6, -1, v6, s[60:61]                 // LDD clip if OOB. offset
/* (d1,vc1,d0,vc0)=(1,3,6,0) */
s_mov_b32 s56, 96                                  // coordOffset0 d0=6 vc0=0
_v_add_co_u32 v4, vcc, v0, s56                     // coord0.2: coord0 += d0*sg0*VW + vc0
v_cmp_lt_u32 s[56:57], v4, s[sgprSizeI]            // coord0 < size0
v_cmp_lt_u32 s[60:61], v1, s[sgprSizeJ]            // coord1 < size1
s_and_b64 s[60:61], s[56:57], s[60:61]             // in0 && in1
_v_add_lshl_u32 v7, v2, v4, 0x3                    // scaleToBpe: accumulate d0 lower and *= bpe into Cin addr
v_cndmask_b32 v7, -1, v7, s[60:61]                 // LDC clip if OOB. offset
_buffer_load_b64 v[12:13], v7, s[sgprSrdC:sgprSrdC+3], 0, offen offset:0,  nt // load C for beta calc
_v_add_lshl_u32 v7, v3, v4, 0x3                    // scaleToBpe: accumulate d0 lower and *= bpe into Cin addr
v_cndmask_b32 v7, -1, v7, s[60:61]                 // LDD clip if OOB. offset
/* (d1,vc1,d0,vc0)=(1,3,7,0) */
s_mov_b32 s56, 112                                 // coordOffset0 d0=7 vc0=0
_v_add_co_u32 v4, vcc, v0, s56                     // coord0.2: coord0 += d0*sg0*VW + vc0
v_cmp_lt_u32 s[56:57], v4, s[sgprSizeI]            // coord0 < size0
v_cmp_lt_u32 s[60:61], v1, s[sgprSizeJ]            // coord1 < size1
s_and_b64 s[60:61], s[56:57], s[60:61]             // in0 && in1
_v_add_lshl_u32 v16, v2, v4, 0x3                   // scaleToBpe: accumulate d0 lower and *= bpe into Cin addr
v_cndmask_b32 v16, -1, v16, s[60:61]               // LDC clip if OOB. offset
_buffer_load_b64 v[18:19], v16, s[sgprSrdC:sgprSrdC+3], 0, offen offset:0,  nt // load C for beta calc
_v_add_lshl_u32 v16, v3, v4, 0x3                   // scaleToBpe: accumulate d0 lower and *= bpe into Cin addr
v_cndmask_b32 v16, -1, v16, s[60:61]               // LDD clip if OOB. offset
/* (d1,vc1,d0,vc0)=(1,3,8,0) */
s_mov_b32 s56, 128                                 // coordOffset0 d0=8 vc0=0
_v_add_co_u32 v4, vcc, v0, s56                     // coord0.2: coord0 += d0*sg0*VW + vc0
v_cmp_lt_u32 s[56:57], v4, s[sgprSizeI]            // coord0 < size0
v_cmp_lt_u32 s[60:61], v1, s[sgprSizeJ]            // coord1 < size1
s_and_b64 s[60:61], s[56:57], s[60:61]             // in0 && in1
_v_add_lshl_u32 v17, v2, v4, 0x3                   // scaleToBpe: accumulate d0 lower and *= bpe into Cin addr
v_cndmask_b32 v17, -1, v17, s[60:61]               // LDC clip if OOB. offset
_buffer_load_b64 v[22:23], v17, s[sgprSrdC:sgprSrdC+3], 0, offen offset:0,  nt // load C for beta calc
_v_add_lshl_u32 v17, v3, v4, 0x3                   // scaleToBpe: accumulate d0 lower and *= bpe into Cin addr
v_cndmask_b32 v17, -1, v17, s[60:61]               // LDD clip if OOB. offset
s_sleep 3 // optimization: sync and wait
s_barrier
v_accvgpr_read_b32 v[vgprValuC+10], acc59 // copy acc to vreg[136]
v_accvgpr_read_b32 v[vgprValuC+11], acc131 // copy acc to vreg[137]
v_accvgpr_read_b32 v[vgprValuC+14], acc63 // copy acc to vreg[138]
v_accvgpr_read_b32 v[vgprValuC+15], acc135 // copy acc to vreg[139]
v_accvgpr_read_b32 v[vgprValuC+20], acc67 // copy acc to vreg[140]
v_accvgpr_read_b32 v[vgprValuC+21], acc139 // copy acc to vreg[141]
v_accvgpr_read_b32 v[vgprValuC+24], acc71 // copy acc to vreg[142]
v_accvgpr_read_b32 v[vgprValuC+25], acc143 // copy acc to vreg[143]
s_nop 1                                            // 2 wait states required before reading vgpr

/* rC *= alpha batchElements=[(1, 5, 3, 0), (1, 6, 3, 0), (1, 7, 3, 0), (1, 8, 3, 0)] */
v_mov_b32 v26, v[vgprValuC+10]                     // store Cr
v_mul_f32 v[vgprValuC+10], s[sgprAlpha], v[vgprValuC+10] // *= alpha ( Cr = Ar * Cr)
_v_mac_f32 v[vgprValuC+10], -s[sgprAlpha+1], v[vgprValuC+11] // *= alpha ( Cr += -Ai * Ci )
v_mul_f32 v[vgprValuC+11], s[sgprAlpha], v[vgprValuC+11] // *= alpha ( Ci = Ar * Ci)
_v_mac_f32 v[vgprValuC+11], s[sgprAlpha+1], v26    // *= alpha ( Ci += Ai * Cr_backup )
v_mov_b32 v26, v[vgprValuC+14]                     // store Cr
v_mul_f32 v[vgprValuC+14], s[sgprAlpha], v[vgprValuC+14] // *= alpha ( Cr = Ar * Cr)
_v_mac_f32 v[vgprValuC+14], -s[sgprAlpha+1], v[vgprValuC+15] // *= alpha ( Cr += -Ai * Ci )
v_mul_f32 v[vgprValuC+15], s[sgprAlpha], v[vgprValuC+15] // *= alpha ( Ci = Ar * Ci)
_v_mac_f32 v[vgprValuC+15], s[sgprAlpha+1], v26    // *= alpha ( Ci += Ai * Cr_backup )
	;; [unrolled: 5-line block ×4, first 2 shown]
s_waitcnt vmcnt(0)                                 // wait C

/* apply mask, calc new C and issue writes */
_v_mac_f32 v[vgprValuC+10], v8, s[sgprBeta]        // finalSum Cr += old Cr * Br
_v_mac_f32 v[vgprValuC+10], v9, -s[sgprBeta+1]     // finalSum Cr += old Ci * -Bi
_v_mac_f32 v[vgprValuC+11], v9, s[sgprBeta]        // finalSum Ci += old Ci * Br
_v_mac_f32 v[vgprValuC+11], v8, s[sgprBeta+1]      // finalSum Ci += old Cr * Bi
_buffer_store_b64 v[10:11], v6, s[sgprSrdD:sgprSrdD+3], 0, offen, offset:0,  nt // store D
_v_mac_f32 v[vgprValuC+14], v12, s[sgprBeta]       // finalSum Cr += old Cr * Br
_v_mac_f32 v[vgprValuC+14], v13, -s[sgprBeta+1]    // finalSum Cr += old Ci * -Bi
_v_mac_f32 v[vgprValuC+15], v13, s[sgprBeta]       // finalSum Ci += old Ci * Br
_v_mac_f32 v[vgprValuC+15], v12, s[sgprBeta+1]     // finalSum Ci += old Cr * Bi
_buffer_store_b64 v[14:15], v7, s[sgprSrdD:sgprSrdD+3], 0, offen, offset:0,  nt // store D
_v_mac_f32 v[vgprValuC+20], v18, s[sgprBeta]       // finalSum Cr += old Cr * Br
_v_mac_f32 v[vgprValuC+20], v19, -s[sgprBeta+1]    // finalSum Cr += old Ci * -Bi
_v_mac_f32 v[vgprValuC+21], v19, s[sgprBeta]       // finalSum Ci += old Ci * Br
_v_mac_f32 v[vgprValuC+21], v18, s[sgprBeta+1]     // finalSum Ci += old Cr * Bi
	;; [unrolled: 5-line block ×3, first 2 shown]
_buffer_store_b64 v[24:25], v17, s[sgprSrdD:sgprSrdD+3], 0, offen, offset:0,  nt // store D
s_nop 0                                            // 1 wait state required when next inst writes vgprs held by previous dwordx4 store inst
s_branch label_GW_End_44                           // jump to end
label_GW_End_44:

label_0049:  /// KernelEnd
s_endpgm                                           // Kernel End

